;; amdgpu-corpus repo=ROCm/rocFFT kind=compiled arch=gfx1201 opt=O3
	.text
	.amdgcn_target "amdgcn-amd-amdhsa--gfx1201"
	.amdhsa_code_object_version 6
	.protected	bluestein_single_back_len1088_dim1_dp_op_CI_CI ; -- Begin function bluestein_single_back_len1088_dim1_dp_op_CI_CI
	.globl	bluestein_single_back_len1088_dim1_dp_op_CI_CI
	.p2align	8
	.type	bluestein_single_back_len1088_dim1_dp_op_CI_CI,@function
bluestein_single_back_len1088_dim1_dp_op_CI_CI: ; @bluestein_single_back_len1088_dim1_dp_op_CI_CI
; %bb.0:
	s_load_b128 s[8:11], s[0:1], 0x28
	v_mul_u32_u24_e32 v1, 0x3c4, v0
	s_mov_b32 s2, exec_lo
	s_delay_alu instid0(VALU_DEP_1) | instskip(NEXT) | instid1(VALU_DEP_1)
	v_lshrrev_b32_e32 v1, 16, v1
	v_mad_co_u64_u32 v[213:214], null, ttmp9, 3, v[1:2]
	v_mov_b32_e32 v214, 0
                                        ; kill: def $vgpr2 killed $sgpr0 killed $exec
	s_wait_kmcnt 0x0
	s_delay_alu instid0(VALU_DEP_1)
	v_cmpx_gt_u64_e64 s[8:9], v[213:214]
	s_cbranch_execz .LBB0_15
; %bb.1:
	v_mul_hi_u32 v2, 0xaaaaaaab, v213
	v_mul_lo_u16 v1, 0x44, v1
	s_clause 0x1
	s_load_b64 s[8:9], s[0:1], 0x0
	s_load_b64 s[12:13], s[0:1], 0x38
	s_delay_alu instid0(VALU_DEP_1) | instskip(NEXT) | instid1(VALU_DEP_3)
	v_sub_nc_u16 v0, v0, v1
	v_lshrrev_b32_e32 v1, 1, v2
	s_delay_alu instid0(VALU_DEP_2) | instskip(SKIP_1) | instid1(VALU_DEP_3)
	v_and_b32_e32 v200, 0xffff, v0
	v_cmp_gt_u16_e32 vcc_lo, 64, v0
	v_lshl_add_u32 v1, v1, 1, v1
	s_delay_alu instid0(VALU_DEP_3) | instskip(NEXT) | instid1(VALU_DEP_2)
	v_lshlrev_b32_e32 v214, 4, v200
	v_sub_nc_u32_e32 v0, v213, v1
	s_delay_alu instid0(VALU_DEP_1) | instskip(NEXT) | instid1(VALU_DEP_1)
	v_mul_u32_u24_e32 v233, 0x440, v0
	v_or_b32_e32 v0, v233, v200
	s_delay_alu instid0(VALU_DEP_1)
	v_lshlrev_b32_e32 v239, 4, v0
	s_and_saveexec_b32 s3, vcc_lo
	s_cbranch_execz .LBB0_3
; %bb.2:
	s_load_b64 s[4:5], s[0:1], 0x18
	v_or_b32_e32 v25, 64, v200
	v_or_b32_e32 v26, 0x80, v200
	v_or_b32_e32 v27, 0xc0, v200
	v_or_b32_e32 v71, 0x2c0, v200
	v_or_b32_e32 v28, 0x100, v200
	v_or_b32_e32 v29, 0x140, v200
	v_or_b32_e32 v78, 0x300, v200
	v_or_b32_e32 v102, 0x380, v200
	v_or_b32_e32 v33, 0x180, v200
	v_or_b32_e32 v56, 0x200, v200
	v_or_b32_e32 v32, 0x1c0, v200
	v_or_b32_e32 v58, 0x240, v200
	v_or_b32_e32 v74, 0x280, v200
	v_or_b32_e32 v90, 0x340, v200
	v_or_b32_e32 v106, 0x3c0, v200
	v_or_b32_e32 v108, 0x400, v200
	s_wait_kmcnt 0x0
	s_load_b128 s[4:7], s[4:5], 0x0
	s_clause 0x1
	global_load_b128 v[0:3], v214, s[8:9]
	global_load_b128 v[4:7], v214, s[8:9] offset:1024
	s_wait_kmcnt 0x0
	v_mad_co_u64_u32 v[8:9], null, s6, v213, 0
	v_mad_co_u64_u32 v[10:11], null, s4, v200, 0
	;; [unrolled: 1-line block ×5, first 2 shown]
	s_delay_alu instid0(VALU_DEP_4) | instskip(NEXT) | instid1(VALU_DEP_4)
	v_mad_co_u64_u32 v[22:23], null, s7, v213, v[9:10]
	v_mad_co_u64_u32 v[23:24], null, s5, v200, v[11:12]
	;; [unrolled: 1-line block ×5, first 2 shown]
	v_mov_b32_e32 v9, v22
	v_mad_co_u64_u32 v[20:21], null, s4, v29, 0
	v_mov_b32_e32 v70, v73
	v_mad_co_u64_u32 v[25:26], null, s5, v26, v[15:16]
	s_delay_alu instid0(VALU_DEP_4)
	v_lshlrev_b64_e32 v[8:9], 4, v[8:9]
	v_mad_co_u64_u32 v[96:97], null, s4, v78, 0
	v_mov_b32_e32 v11, v23
	v_mad_co_u64_u32 v[26:27], null, s5, v27, v[17:18]
	v_mad_co_u64_u32 v[104:105], null, s4, v102, 0
	v_mov_b32_e32 v13, v24
	v_mad_co_u64_u32 v[27:28], null, s5, v28, v[19:20]
	v_mad_co_u64_u32 v[28:29], null, s5, v29, v[21:22]
	v_lshlrev_b64_e32 v[10:11], 4, v[10:11]
	v_mov_b32_e32 v15, v25
	v_add_co_u32 v122, s2, s10, v8
	v_lshlrev_b64_e32 v[12:13], 4, v[12:13]
	v_add_co_ci_u32_e64 v123, s2, s11, v9, s2
	v_mov_b32_e32 v17, v26
	v_mad_co_u64_u32 v[40:41], null, s4, v33, 0
	v_lshlrev_b64_e32 v[14:15], 4, v[14:15]
	v_add_co_u32 v8, s2, v122, v10
	v_mov_b32_e32 v21, v28
	s_wait_alu 0xf1ff
	v_add_co_ci_u32_e64 v9, s2, v123, v11, s2
	v_lshlrev_b64_e32 v[16:17], 4, v[16:17]
	v_add_co_u32 v10, s2, v122, v12
	s_wait_alu 0xf1ff
	v_add_co_ci_u32_e64 v11, s2, v123, v13, s2
	v_mad_co_u64_u32 v[64:65], null, s4, v56, 0
	v_mad_co_u64_u32 v[48:49], null, s4, v32, 0
	v_add_co_u32 v12, s2, v122, v14
	v_lshlrev_b64_e32 v[30:31], 4, v[20:21]
	s_delay_alu instid0(VALU_DEP_4)
	v_dual_mov_b32 v29, v41 :: v_dual_mov_b32 v52, v65
	v_mov_b32_e32 v19, v27
	s_wait_alu 0xf1ff
	v_add_co_ci_u32_e64 v13, s2, v123, v15, s2
	v_add_co_u32 v26, s2, v122, v16
	s_wait_alu 0xf1ff
	v_add_co_ci_u32_e64 v27, s2, v123, v17, s2
	v_lshlrev_b64_e32 v[24:25], 4, v[18:19]
	s_clause 0x3
	global_load_b128 v[20:23], v[8:9], off
	global_load_b128 v[16:19], v[10:11], off
	global_load_b128 v[12:15], v[12:13], off
	global_load_b128 v[8:11], v[26:27], off
	v_mad_co_u64_u32 v[26:27], null, s5, v33, v[29:30]
	v_mov_b32_e32 v27, v49
	v_mad_co_u64_u32 v[66:67], null, s4, v58, 0
	v_add_co_u32 v24, s2, v122, v24
	s_delay_alu instid0(VALU_DEP_3) | instskip(SKIP_4) | instid1(VALU_DEP_3)
	v_mad_co_u64_u32 v[42:43], null, s5, v32, v[27:28]
	v_mov_b32_e32 v41, v26
	s_wait_alu 0xf1ff
	v_add_co_ci_u32_e64 v25, s2, v123, v25, s2
	v_add_co_u32 v43, s2, v122, v30
	v_lshlrev_b64_e32 v[50:51], 4, v[40:41]
	v_mov_b32_e32 v49, v42
	v_mov_b32_e32 v53, v67
	s_wait_alu 0xf1ff
	v_add_co_ci_u32_e64 v44, s2, v123, v31, s2
	v_mad_co_u64_u32 v[98:99], null, s4, v90, 0
	v_lshlrev_b64_e32 v[48:49], 4, v[48:49]
	v_add_co_u32 v50, s2, v122, v50
	s_wait_alu 0xf1ff
	v_add_co_ci_u32_e64 v51, s2, v123, v51, s2
	v_mad_co_u64_u32 v[56:57], null, s5, v56, v[52:53]
	s_delay_alu instid0(VALU_DEP_4)
	v_add_co_u32 v54, s2, v122, v48
	s_wait_alu 0xf1ff
	v_add_co_ci_u32_e64 v55, s2, v123, v49, s2
	s_clause 0x1
	global_load_b128 v[36:39], v214, s[8:9] offset:2048
	global_load_b128 v[32:35], v214, s[8:9] offset:3072
	s_clause 0x1
	global_load_b128 v[28:31], v[24:25], off
	global_load_b128 v[24:27], v[43:44], off
	v_mad_co_u64_u32 v[67:68], null, s5, v58, v[53:54]
	v_mad_co_u64_u32 v[68:69], null, s4, v74, 0
	v_mov_b32_e32 v65, v56
	s_clause 0x1
	global_load_b128 v[40:43], v214, s[8:9] offset:4096
	global_load_b128 v[44:47], v214, s[8:9] offset:5120
	s_clause 0x1
	global_load_b128 v[48:51], v[50:51], off
	global_load_b128 v[52:55], v[54:55], off
	s_clause 0x1
	global_load_b128 v[56:59], v214, s[8:9] offset:6144
	global_load_b128 v[60:63], v214, s[8:9] offset:7168
	v_lshlrev_b64_e32 v[66:67], 4, v[66:67]
	v_lshlrev_b64_e32 v[64:65], 4, v[64:65]
	v_mad_co_u64_u32 v[73:74], null, s5, v74, v[69:70]
	v_mad_co_u64_u32 v[70:71], null, s5, v71, v[70:71]
	;; [unrolled: 1-line block ×3, first 2 shown]
	s_delay_alu instid0(VALU_DEP_4)
	v_add_co_u32 v64, s2, v122, v64
	s_wait_alu 0xf1ff
	v_add_co_ci_u32_e64 v65, s2, v123, v65, s2
	v_add_co_u32 v74, s2, v122, v66
	v_mov_b32_e32 v69, v73
	s_wait_alu 0xf1ff
	v_add_co_ci_u32_e64 v75, s2, v123, v67, s2
	v_mov_b32_e32 v73, v70
	v_mov_b32_e32 v101, v113
	v_lshlrev_b64_e32 v[76:77], 4, v[68:69]
	s_clause 0x1
	global_load_b128 v[64:67], v[64:65], off
	global_load_b128 v[68:71], v[74:75], off
	v_mov_b32_e32 v74, v97
	v_mad_co_u64_u32 v[116:117], null, s4, v108, 0
	v_lshlrev_b64_e32 v[72:73], 4, v[72:73]
	v_add_co_u32 v80, s2, v122, v76
	s_delay_alu instid0(VALU_DEP_4) | instskip(SKIP_4) | instid1(VALU_DEP_3)
	v_mad_co_u64_u32 v[88:89], null, s5, v78, v[74:75]
	v_mov_b32_e32 v89, v99
	s_wait_alu 0xf1ff
	v_add_co_ci_u32_e64 v81, s2, v123, v77, s2
	v_add_co_u32 v84, s2, v122, v72
	v_mad_co_u64_u32 v[99:100], null, s5, v90, v[89:90]
	v_dual_mov_b32 v100, v105 :: v_dual_mov_b32 v97, v88
	s_wait_alu 0xf1ff
	v_add_co_ci_u32_e64 v85, s2, v123, v73, s2
	s_clause 0x1
	global_load_b128 v[72:75], v214, s[8:9] offset:8192
	global_load_b128 v[76:79], v214, s[8:9] offset:9216
	v_mad_co_u64_u32 v[102:103], null, s5, v102, v[100:101]
	v_lshlrev_b64_e32 v[96:97], 4, v[96:97]
	v_lshlrev_b64_e32 v[98:99], 4, v[98:99]
	s_clause 0x1
	global_load_b128 v[80:83], v[80:81], off
	global_load_b128 v[84:87], v[84:85], off
	s_clause 0x1
	global_load_b128 v[88:91], v214, s[8:9] offset:10240
	global_load_b128 v[92:95], v214, s[8:9] offset:11264
	v_mad_co_u64_u32 v[100:101], null, s5, v106, v[101:102]
	v_mov_b32_e32 v101, v117
	v_mov_b32_e32 v105, v102
	v_add_co_u32 v96, s2, v122, v96
	s_wait_alu 0xf1ff
	v_add_co_ci_u32_e64 v97, s2, v123, v97, s2
	v_mad_co_u64_u32 v[114:115], null, s5, v108, v[101:102]
	v_mov_b32_e32 v113, v100
	v_lshlrev_b64_e32 v[118:119], 4, v[104:105]
	v_add_co_u32 v106, s2, v122, v98
	s_wait_alu 0xf1ff
	v_add_co_ci_u32_e64 v107, s2, v123, v99, s2
	v_mov_b32_e32 v117, v114
	v_lshlrev_b64_e32 v[120:121], 4, v[112:113]
	v_add_co_u32 v118, s2, v122, v118
	s_wait_alu 0xf1ff
	v_add_co_ci_u32_e64 v119, s2, v123, v119, s2
	v_lshlrev_b64_e32 v[116:117], 4, v[116:117]
	s_delay_alu instid0(VALU_DEP_4)
	v_add_co_u32 v120, s2, v122, v120
	s_wait_alu 0xf1ff
	v_add_co_ci_u32_e64 v121, s2, v123, v121, s2
	s_clause 0x1
	global_load_b128 v[96:99], v[96:97], off
	global_load_b128 v[100:103], v[106:107], off
	s_clause 0x1
	global_load_b128 v[104:107], v214, s[8:9] offset:12288
	global_load_b128 v[108:111], v214, s[8:9] offset:13312
	v_add_co_u32 v132, s2, v122, v116
	global_load_b128 v[112:115], v214, s[8:9] offset:14336
	s_wait_alu 0xf1ff
	v_add_co_ci_u32_e64 v133, s2, v123, v117, s2
	s_clause 0x1
	global_load_b128 v[116:119], v[118:119], off
	global_load_b128 v[120:123], v[120:121], off
	s_clause 0x1
	global_load_b128 v[124:127], v214, s[8:9] offset:15360
	global_load_b128 v[128:131], v214, s[8:9] offset:16384
	global_load_b128 v[132:135], v[132:133], off
	s_wait_loadcnt 0x1f
	v_mul_f64_e32 v[136:137], v[22:23], v[2:3]
	v_mul_f64_e32 v[2:3], v[20:21], v[2:3]
	s_wait_loadcnt 0x1e
	v_mul_f64_e32 v[138:139], v[18:19], v[6:7]
	v_mul_f64_e32 v[6:7], v[16:17], v[6:7]
	s_wait_loadcnt 0x1b
	v_mul_f64_e32 v[140:141], v[14:15], v[38:39]
	v_mul_f64_e32 v[38:39], v[12:13], v[38:39]
	s_wait_loadcnt 0x1a
	v_mul_f64_e32 v[142:143], v[10:11], v[34:35]
	v_mul_f64_e32 v[34:35], v[8:9], v[34:35]
	v_fma_f64 v[20:21], v[20:21], v[0:1], v[136:137]
	v_fma_f64 v[22:23], v[22:23], v[0:1], -v[2:3]
	v_fma_f64 v[0:1], v[16:17], v[4:5], v[138:139]
	s_wait_loadcnt 0x17
	v_mul_f64_e32 v[144:145], v[30:31], v[42:43]
	v_mul_f64_e32 v[42:43], v[28:29], v[42:43]
	s_wait_loadcnt 0x16
	v_mul_f64_e32 v[146:147], v[26:27], v[46:47]
	v_mul_f64_e32 v[46:47], v[24:25], v[46:47]
	;; [unrolled: 3-line block ×4, first 2 shown]
	v_fma_f64 v[2:3], v[18:19], v[4:5], -v[6:7]
	v_fma_f64 v[4:5], v[12:13], v[36:37], v[140:141]
	v_fma_f64 v[6:7], v[14:15], v[36:37], -v[38:39]
	v_fma_f64 v[8:9], v[8:9], v[32:33], v[142:143]
	;; [unrolled: 2-line block ×5, first 2 shown]
	s_wait_loadcnt 0xf
	v_mul_f64_e32 v[152:153], v[66:67], v[74:75]
	v_mul_f64_e32 v[74:75], v[64:65], v[74:75]
	s_wait_loadcnt 0xe
	v_mul_f64_e32 v[154:155], v[70:71], v[78:79]
	v_mul_f64_e32 v[78:79], v[68:69], v[78:79]
	v_fma_f64 v[26:27], v[50:51], v[56:57], -v[58:59]
	v_fma_f64 v[28:29], v[52:53], v[60:61], v[150:151]
	s_wait_loadcnt 0xb
	v_mul_f64_e32 v[156:157], v[82:83], v[90:91]
	v_mul_f64_e32 v[90:91], v[80:81], v[90:91]
	s_wait_loadcnt 0xa
	v_mul_f64_e32 v[158:159], v[86:87], v[94:95]
	v_mul_f64_e32 v[94:95], v[84:85], v[94:95]
	v_fma_f64 v[30:31], v[54:55], v[60:61], -v[62:63]
	s_wait_loadcnt 0x7
	v_mul_f64_e32 v[160:161], v[98:99], v[106:107]
	v_mul_f64_e32 v[106:107], v[96:97], v[106:107]
	s_wait_loadcnt 0x6
	v_mul_f64_e32 v[162:163], v[102:103], v[110:111]
	v_mul_f64_e32 v[110:111], v[100:101], v[110:111]
	;; [unrolled: 3-line block ×5, first 2 shown]
	v_fma_f64 v[32:33], v[64:65], v[72:73], v[152:153]
	v_fma_f64 v[34:35], v[66:67], v[72:73], -v[74:75]
	v_fma_f64 v[36:37], v[68:69], v[76:77], v[154:155]
	v_fma_f64 v[38:39], v[70:71], v[76:77], -v[78:79]
	;; [unrolled: 2-line block ×4, first 2 shown]
	v_lshl_add_u32 v68, v233, 4, v214
	v_fma_f64 v[48:49], v[96:97], v[104:105], v[160:161]
	v_fma_f64 v[50:51], v[98:99], v[104:105], -v[106:107]
	v_fma_f64 v[52:53], v[100:101], v[108:109], v[162:163]
	v_fma_f64 v[54:55], v[102:103], v[108:109], -v[110:111]
	;; [unrolled: 2-line block ×5, first 2 shown]
	ds_store_b128 v239, v[20:23]
	ds_store_b128 v68, v[0:3] offset:1024
	ds_store_b128 v68, v[4:7] offset:2048
	;; [unrolled: 1-line block ×16, first 2 shown]
.LBB0_3:
	s_or_b32 exec_lo, exec_lo, s3
	s_clause 0x1
	s_load_b64 s[2:3], s[0:1], 0x20
	s_load_b64 s[4:5], s[0:1], 0x8
	v_lshlrev_b32_e32 v252, 4, v233
	global_wb scope:SCOPE_SE
	s_wait_dscnt 0x0
	s_wait_kmcnt 0x0
	s_barrier_signal -1
	s_barrier_wait -1
	global_inv scope:SCOPE_SE
                                        ; implicit-def: $vgpr4_vgpr5
                                        ; implicit-def: $vgpr60_vgpr61
                                        ; implicit-def: $vgpr56_vgpr57
                                        ; implicit-def: $vgpr44_vgpr45
                                        ; implicit-def: $vgpr40_vgpr41
                                        ; implicit-def: $vgpr28_vgpr29
                                        ; implicit-def: $vgpr24_vgpr25
                                        ; implicit-def: $vgpr12_vgpr13
                                        ; implicit-def: $vgpr8_vgpr9
                                        ; implicit-def: $vgpr16_vgpr17
                                        ; implicit-def: $vgpr20_vgpr21
                                        ; implicit-def: $vgpr32_vgpr33
                                        ; implicit-def: $vgpr36_vgpr37
                                        ; implicit-def: $vgpr48_vgpr49
                                        ; implicit-def: $vgpr52_vgpr53
                                        ; implicit-def: $vgpr64_vgpr65
                                        ; implicit-def: $vgpr68_vgpr69
	s_and_saveexec_b32 s0, vcc_lo
	s_cbranch_execz .LBB0_5
; %bb.4:
	v_lshl_add_u32 v0, v200, 4, v252
	ds_load_b128 v[4:7], v239
	ds_load_b128 v[68:71], v0 offset:1024
	ds_load_b128 v[64:67], v0 offset:2048
	;; [unrolled: 1-line block ×16, first 2 shown]
.LBB0_5:
	s_wait_alu 0xfffe
	s_or_b32 exec_lo, exec_lo, s0
	s_wait_dscnt 0x0
	v_add_f64_e64 v[158:159], v[70:71], -v[10:11]
	v_add_f64_e64 v[162:163], v[68:69], -v[8:9]
	s_mov_b32 s0, 0x5d8e7cdc
	s_mov_b32 s1, 0xbfd71e95
	v_add_f64_e32 v[152:153], v[8:9], v[68:69]
	v_add_f64_e32 v[164:165], v[10:11], v[70:71]
	v_add_f64_e64 v[98:99], v[66:67], -v[14:15]
	v_add_f64_e64 v[72:73], v[64:65], -v[12:13]
	s_mov_b32 s6, 0x370991
	s_mov_b32 s14, 0x2a9d6da3
	s_mov_b32 s7, 0x3fedd6d0
	s_mov_b32 s15, 0xbfe58eea
	v_add_f64_e32 v[74:75], v[12:13], v[64:65]
	v_add_f64_e32 v[102:103], v[14:15], v[66:67]
	v_add_f64_e64 v[104:105], v[62:63], -v[18:19]
	v_add_f64_e64 v[76:77], v[60:61], -v[16:17]
	s_mov_b32 s18, 0x75d4884
	s_mov_b32 s10, 0x7c9e640b
	;; [unrolled: 8-line block ×4, first 2 shown]
	s_mov_b32 s23, 0x3fb79ee6
	s_mov_b32 s21, 0xbfeec746
	v_add_f64_e32 v[114:115], v[26:27], v[54:55]
	v_add_f64_e64 v[116:117], v[50:51], -v[30:31]
	s_wait_alu 0xfffe
	v_mul_f64_e32 v[160:161], s[0:1], v[158:159]
	v_mul_f64_e32 v[166:167], s[0:1], v[162:163]
	s_mov_b32 s24, 0xc61f0d01
	s_mov_b32 s34, 0x6c9a05f6
	;; [unrolled: 1-line block ×4, first 2 shown]
	v_mul_f64_e32 v[128:129], s[14:15], v[98:99]
	v_mul_f64_e32 v[130:131], s[14:15], v[72:73]
	v_add_f64_e32 v[118:119], v[30:31], v[50:51]
	v_add_f64_e64 v[120:121], v[46:47], -v[34:35]
	s_mov_b32 s30, 0x6ed5f1bb
	s_mov_b32 s28, 0x4363dd80
	;; [unrolled: 1-line block ×4, first 2 shown]
	v_mul_f64_e32 v[132:133], s[10:11], v[104:105]
	v_mul_f64_e32 v[134:135], s[10:11], v[76:77]
	v_add_f64_e32 v[122:123], v[46:47], v[34:35]
	v_add_f64_e64 v[124:125], v[42:43], -v[38:39]
	s_mov_b32 s36, 0x910ea3b9
	s_mov_b32 s40, 0xacd6c6b4
	;; [unrolled: 1-line block ×4, first 2 shown]
	v_mul_f64_e32 v[138:139], s[26:27], v[80:81]
	v_mul_f64_e32 v[136:137], s[26:27], v[108:109]
	s_mov_b32 s38, 0x7faef3
	s_mov_b32 s39, 0xbfef7484
	global_wb scope:SCOPE_SE
	s_barrier_signal -1
	s_barrier_wait -1
	global_inv scope:SCOPE_SE
	v_mul_f64_e32 v[142:143], s[20:21], v[84:85]
	v_mul_f64_e32 v[140:141], s[20:21], v[112:113]
	;; [unrolled: 1-line block ×3, first 2 shown]
	v_fma_f64 v[0:1], v[152:153], s[6:7], v[160:161]
	v_fma_f64 v[2:3], v[164:165], s[6:7], -v[166:167]
	v_fma_f64 v[86:87], v[74:75], s[18:19], v[128:129]
	v_fma_f64 v[88:89], v[102:103], s[18:19], -v[130:131]
	v_mul_f64_e32 v[148:149], s[28:29], v[120:121]
	v_fma_f64 v[90:91], v[78:79], s[16:17], v[132:133]
	v_fma_f64 v[92:93], v[106:107], s[16:17], -v[134:135]
	v_mul_f64_e32 v[154:155], s[40:41], v[124:125]
	v_fma_f64 v[96:97], v[110:111], s[22:23], -v[138:139]
	v_fma_f64 v[94:95], v[82:83], s[22:23], v[136:137]
	v_fma_f64 v[126:127], v[114:115], s[24:25], -v[142:143]
	v_add_f64_e32 v[0:1], v[4:5], v[0:1]
	v_add_f64_e32 v[2:3], v[6:7], v[2:3]
	s_delay_alu instid0(VALU_DEP_2) | instskip(NEXT) | instid1(VALU_DEP_2)
	v_add_f64_e32 v[0:1], v[86:87], v[0:1]
	v_add_f64_e32 v[2:3], v[88:89], v[2:3]
	;; [unrolled: 1-line block ×3, first 2 shown]
	v_add_f64_e64 v[88:89], v[48:49], -v[28:29]
	s_delay_alu instid0(VALU_DEP_4) | instskip(NEXT) | instid1(VALU_DEP_4)
	v_add_f64_e32 v[0:1], v[90:91], v[0:1]
	v_add_f64_e32 v[2:3], v[92:93], v[2:3]
	;; [unrolled: 1-line block ×3, first 2 shown]
	v_add_f64_e64 v[92:93], v[44:45], -v[32:33]
	v_mul_f64_e32 v[146:147], s[34:35], v[88:89]
	v_fma_f64 v[100:101], v[86:87], s[24:25], v[140:141]
	v_add_f64_e32 v[0:1], v[94:95], v[0:1]
	v_add_f64_e32 v[2:3], v[96:97], v[2:3]
	;; [unrolled: 1-line block ×3, first 2 shown]
	v_add_f64_e64 v[96:97], v[40:41], -v[36:37]
	v_mul_f64_e32 v[150:151], s[28:29], v[92:93]
	v_fma_f64 v[168:169], v[90:91], s[30:31], v[144:145]
	v_fma_f64 v[170:171], v[118:119], s[30:31], -v[146:147]
	v_add_f64_e32 v[0:1], v[100:101], v[0:1]
	v_add_f64_e32 v[2:3], v[126:127], v[2:3]
	;; [unrolled: 1-line block ×4, first 2 shown]
	v_mul_f64_e32 v[156:157], s[40:41], v[96:97]
	v_fma_f64 v[172:173], v[94:95], s[36:37], v[148:149]
	v_fma_f64 v[174:175], v[122:123], s[36:37], -v[150:151]
	v_add_f64_e32 v[0:1], v[168:169], v[0:1]
	v_add_f64_e32 v[2:3], v[170:171], v[2:3]
	v_fma_f64 v[168:169], v[100:101], s[38:39], v[154:155]
	v_fma_f64 v[170:171], v[126:127], s[38:39], -v[156:157]
	s_delay_alu instid0(VALU_DEP_4) | instskip(NEXT) | instid1(VALU_DEP_4)
	v_add_f64_e32 v[0:1], v[172:173], v[0:1]
	v_add_f64_e32 v[2:3], v[174:175], v[2:3]
	s_delay_alu instid0(VALU_DEP_2) | instskip(NEXT) | instid1(VALU_DEP_2)
	v_add_f64_e32 v[245:246], v[168:169], v[0:1]
	v_add_f64_e32 v[247:248], v[170:171], v[2:3]
	s_and_saveexec_b32 s33, vcc_lo
	s_cbranch_execz .LBB0_7
; %bb.6:
	v_add_f64_e32 v[0:1], v[6:7], v[70:71]
	v_add_f64_e32 v[2:3], v[4:5], v[68:69]
	s_mov_b32 s47, 0x3fe0d888
	s_mov_b32 s46, s28
	;; [unrolled: 1-line block ×16, first 2 shown]
	v_mul_f64_e32 v[172:173], s[20:21], v[120:121]
	v_mul_f64_e32 v[174:175], s[22:23], v[126:127]
	;; [unrolled: 1-line block ×20, first 2 shown]
	v_add_f64_e32 v[0:1], v[66:67], v[0:1]
	v_add_f64_e32 v[2:3], v[64:65], v[2:3]
	v_mul_f64_e32 v[66:67], s[6:7], v[152:153]
	v_mul_f64_e32 v[217:218], s[36:37], v[102:103]
	;; [unrolled: 1-line block ×11, first 2 shown]
	v_mov_b32_e32 v244, v239
	v_mul_f64_e32 v[238:239], s[0:1], v[120:121]
	v_mul_f64_e32 v[240:241], s[30:31], v[126:127]
	;; [unrolled: 1-line block ×3, first 2 shown]
	v_add_f64_e32 v[0:1], v[62:63], v[0:1]
	v_add_f64_e32 v[2:3], v[60:61], v[2:3]
	v_add_f64_e64 v[66:67], v[66:67], -v[160:161]
	s_delay_alu instid0(VALU_DEP_3) | instskip(NEXT) | instid1(VALU_DEP_3)
	v_add_f64_e32 v[0:1], v[58:59], v[0:1]
	v_add_f64_e32 v[2:3], v[56:57], v[2:3]
	s_delay_alu instid0(VALU_DEP_2) | instskip(NEXT) | instid1(VALU_DEP_2)
	v_add_f64_e32 v[0:1], v[54:55], v[0:1]
	v_add_f64_e32 v[2:3], v[52:53], v[2:3]
	s_delay_alu instid0(VALU_DEP_2) | instskip(NEXT) | instid1(VALU_DEP_2)
	v_add_f64_e32 v[0:1], v[50:51], v[0:1]
	v_add_f64_e32 v[2:3], v[48:49], v[2:3]
	v_mul_f64_e32 v[48:49], s[10:11], v[158:159]
	v_mul_f64_e32 v[50:51], s[14:15], v[158:159]
	s_delay_alu instid0(VALU_DEP_4) | instskip(NEXT) | instid1(VALU_DEP_4)
	v_add_f64_e32 v[0:1], v[46:47], v[0:1]
	v_add_f64_e32 v[2:3], v[44:45], v[2:3]
	v_mul_f64_e32 v[44:45], s[20:21], v[158:159]
	v_mul_f64_e32 v[46:47], s[26:27], v[158:159]
	v_fma_f64 v[62:63], v[152:153], s[16:17], v[48:49]
	v_fma_f64 v[48:49], v[152:153], s[16:17], -v[48:49]
	v_fma_f64 v[64:65], v[152:153], s[18:19], v[50:51]
	v_fma_f64 v[50:51], v[152:153], s[18:19], -v[50:51]
	v_add_f64_e32 v[0:1], v[42:43], v[0:1]
	v_add_f64_e32 v[2:3], v[40:41], v[2:3]
	v_mul_f64_e32 v[40:41], s[28:29], v[158:159]
	v_mul_f64_e32 v[42:43], s[34:35], v[158:159]
	v_fma_f64 v[58:59], v[152:153], s[24:25], v[44:45]
	v_fma_f64 v[44:45], v[152:153], s[24:25], -v[44:45]
	v_fma_f64 v[60:61], v[152:153], s[22:23], v[46:47]
	v_fma_f64 v[46:47], v[152:153], s[22:23], -v[46:47]
	v_add_f64_e32 v[170:171], v[4:5], v[62:63]
	v_add_f64_e32 v[48:49], v[4:5], v[48:49]
	v_add_f64_e32 v[0:1], v[38:39], v[0:1]
	v_add_f64_e32 v[2:3], v[36:37], v[2:3]
	v_mul_f64_e32 v[38:39], s[40:41], v[158:159]
	v_mul_f64_e32 v[36:37], s[6:7], v[164:165]
	v_fma_f64 v[54:55], v[152:153], s[36:37], v[40:41]
	v_fma_f64 v[40:41], v[152:153], s[36:37], -v[40:41]
	v_fma_f64 v[56:57], v[152:153], s[30:31], v[42:43]
	v_fma_f64 v[42:43], v[152:153], s[30:31], -v[42:43]
	v_add_f64_e32 v[58:59], v[4:5], v[58:59]
	v_add_f64_e32 v[44:45], v[4:5], v[44:45]
	;; [unrolled: 1-line block ×6, first 2 shown]
	v_mul_f64_e32 v[32:33], s[18:19], v[164:165]
	v_fma_f64 v[52:53], v[152:153], s[38:39], v[38:39]
	v_fma_f64 v[38:39], v[152:153], s[38:39], -v[38:39]
	v_add_f64_e32 v[36:37], v[166:167], v[36:37]
	v_add_f64_e32 v[54:55], v[4:5], v[54:55]
	;; [unrolled: 1-line block ×7, first 2 shown]
	v_mul_f64_e32 v[28:29], s[16:17], v[164:165]
	v_fma_f64 v[34:35], v[162:163], s[54:55], v[32:33]
	v_fma_f64 v[32:33], v[162:163], s[14:15], v[32:33]
	v_add_f64_e32 v[52:53], v[4:5], v[52:53]
	v_add_f64_e32 v[38:39], v[4:5], v[38:39]
	;; [unrolled: 1-line block ×4, first 2 shown]
	v_mul_f64_e32 v[24:25], s[22:23], v[164:165]
	v_fma_f64 v[30:31], v[162:163], s[50:51], v[28:29]
	v_fma_f64 v[28:29], v[162:163], s[10:11], v[28:29]
	v_add_f64_e32 v[32:33], v[6:7], v[32:33]
	v_add_f64_e32 v[0:1], v[22:23], v[0:1]
	;; [unrolled: 1-line block ×3, first 2 shown]
	v_mul_f64_e32 v[20:21], s[24:25], v[164:165]
	v_fma_f64 v[26:27], v[162:163], s[48:49], v[24:25]
	v_fma_f64 v[24:25], v[162:163], s[26:27], v[24:25]
	v_add_f64_e32 v[168:169], v[6:7], v[30:31]
	v_add_f64_e32 v[30:31], v[4:5], v[66:67]
	v_add_f64_e32 v[62:63], v[6:7], v[28:29]
	v_add_f64_e32 v[28:29], v[6:7], v[36:37]
	v_mul_f64_e32 v[36:37], s[30:31], v[114:115]
	v_mul_f64_e32 v[66:67], s[24:25], v[122:123]
	v_add_f64_e32 v[0:1], v[18:19], v[0:1]
	v_add_f64_e32 v[2:3], v[16:17], v[2:3]
	v_mul_f64_e32 v[16:17], s[30:31], v[164:165]
	v_fma_f64 v[22:23], v[162:163], s[56:57], v[20:21]
	v_fma_f64 v[20:21], v[162:163], s[20:21], v[20:21]
	v_add_f64_e32 v[166:167], v[6:7], v[26:27]
	v_add_f64_e32 v[42:43], v[6:7], v[24:25]
	v_mul_f64_e32 v[24:25], s[18:19], v[110:111]
	v_mul_f64_e32 v[26:27], s[54:55], v[108:109]
	v_add_f64_e32 v[0:1], v[14:15], v[0:1]
	v_add_f64_e32 v[2:3], v[12:13], v[2:3]
	v_mul_f64_e32 v[12:13], s[36:37], v[164:165]
	v_fma_f64 v[18:19], v[162:163], s[44:45], v[16:17]
	v_fma_f64 v[16:17], v[162:163], s[34:35], v[16:17]
	v_add_f64_e32 v[10:11], v[10:11], v[0:1]
	v_mul_f64_e32 v[0:1], s[38:39], v[164:165]
	v_fma_f64 v[14:15], v[162:163], s[46:47], v[12:13]
	v_fma_f64 v[12:13], v[162:163], s[28:29], v[12:13]
	v_add_f64_e32 v[8:9], v[8:9], v[2:3]
	v_add_f64_e32 v[152:153], v[6:7], v[18:19]
	;; [unrolled: 1-line block ×7, first 2 shown]
	v_mul_f64_e32 v[20:21], s[36:37], v[106:107]
	v_mul_f64_e32 v[50:51], s[34:35], v[112:113]
	;; [unrolled: 1-line block ×3, first 2 shown]
	v_fma_f64 v[2:3], v[162:163], s[42:43], v[0:1]
	v_fma_f64 v[0:1], v[162:163], s[40:41], v[0:1]
	v_add_f64_e32 v[70:71], v[6:7], v[12:13]
	v_mul_f64_e32 v[12:13], s[6:7], v[102:103]
	v_add_f64_e32 v[68:69], v[6:7], v[14:15]
	v_mul_f64_e32 v[14:15], s[52:53], v[98:99]
	v_add_f64_e32 v[162:163], v[6:7], v[22:23]
	v_mul_f64_e32 v[22:23], s[28:29], v[104:105]
	v_add_f64_e32 v[2:3], v[6:7], v[2:3]
	v_add_f64_e32 v[0:1], v[6:7], v[0:1]
	v_fma_f64 v[6:7], v[76:77], s[46:47], v[20:21]
	v_fma_f64 v[4:5], v[72:73], s[0:1], v[12:13]
	;; [unrolled: 1-line block ×3, first 2 shown]
	s_delay_alu instid0(VALU_DEP_2) | instskip(SKIP_1) | instid1(VALU_DEP_3)
	v_add_f64_e32 v[2:3], v[4:5], v[2:3]
	v_fma_f64 v[4:5], v[74:75], s[6:7], v[14:15]
	v_add_f64_e32 v[0:1], v[12:13], v[0:1]
	v_fma_f64 v[12:13], v[74:75], s[6:7], -v[14:15]
	v_fma_f64 v[14:15], v[76:77], s[28:29], v[20:21]
	v_add_f64_e32 v[2:3], v[6:7], v[2:3]
	v_add_f64_e32 v[4:5], v[4:5], v[52:53]
	v_fma_f64 v[6:7], v[78:79], s[36:37], v[22:23]
	v_add_f64_e32 v[12:13], v[12:13], v[38:39]
	v_add_f64_e32 v[0:1], v[14:15], v[0:1]
	v_fma_f64 v[14:15], v[78:79], s[36:37], -v[22:23]
	v_mul_f64_e32 v[52:53], s[16:17], v[118:119]
	v_mul_f64_e32 v[38:39], s[30:31], v[110:111]
	v_add_f64_e32 v[4:5], v[6:7], v[4:5]
	v_fma_f64 v[6:7], v[80:81], s[14:15], v[24:25]
	v_add_f64_e32 v[12:13], v[14:15], v[12:13]
	v_fma_f64 v[14:15], v[80:81], s[54:55], v[24:25]
	v_mul_f64_e32 v[24:25], s[50:51], v[98:99]
	s_delay_alu instid0(VALU_DEP_4) | instskip(SKIP_1) | instid1(VALU_DEP_4)
	v_add_f64_e32 v[2:3], v[6:7], v[2:3]
	v_fma_f64 v[6:7], v[82:83], s[18:19], v[26:27]
	v_add_f64_e32 v[0:1], v[14:15], v[0:1]
	v_fma_f64 v[14:15], v[82:83], s[18:19], -v[26:27]
	v_mul_f64_e32 v[26:27], s[22:23], v[106:107]
	v_fma_f64 v[20:21], v[74:75], s[16:17], v[24:25]
	v_fma_f64 v[24:25], v[74:75], s[16:17], -v[24:25]
	v_add_f64_e32 v[4:5], v[6:7], v[4:5]
	v_fma_f64 v[6:7], v[84:85], s[44:45], v[36:37]
	v_add_f64_e32 v[12:13], v[14:15], v[12:13]
	v_fma_f64 v[14:15], v[84:85], s[34:35], v[36:37]
	v_fma_f64 v[22:23], v[76:77], s[48:49], v[26:27]
	v_mul_f64_e32 v[36:37], s[26:27], v[104:105]
	v_add_f64_e32 v[20:21], v[20:21], v[54:55]
	v_fma_f64 v[26:27], v[76:77], s[26:27], v[26:27]
	v_add_f64_e32 v[24:25], v[24:25], v[40:41]
	v_mul_f64_e32 v[54:55], s[0:1], v[112:113]
	v_mul_f64_e32 v[40:41], s[22:23], v[110:111]
	v_add_f64_e32 v[2:3], v[6:7], v[2:3]
	v_fma_f64 v[6:7], v[86:87], s[30:31], v[50:51]
	v_add_f64_e32 v[0:1], v[14:15], v[0:1]
	v_fma_f64 v[14:15], v[86:87], s[30:31], -v[50:51]
	v_mul_f64_e32 v[50:51], s[44:45], v[108:109]
	v_add_f64_e32 v[40:41], v[138:139], v[40:41]
	v_mul_f64_e32 v[138:139], s[24:25], v[118:119]
	v_add_f64_e32 v[4:5], v[6:7], v[4:5]
	v_fma_f64 v[6:7], v[88:89], s[10:11], v[52:53]
	v_add_f64_e32 v[12:13], v[14:15], v[12:13]
	v_fma_f64 v[14:15], v[88:89], s[50:51], v[52:53]
	v_mul_f64_e32 v[52:53], s[6:7], v[114:115]
	s_delay_alu instid0(VALU_DEP_4) | instskip(SKIP_1) | instid1(VALU_DEP_4)
	v_add_f64_e32 v[2:3], v[6:7], v[2:3]
	v_fma_f64 v[6:7], v[90:91], s[16:17], v[64:65]
	v_add_f64_e32 v[0:1], v[14:15], v[0:1]
	v_fma_f64 v[14:15], v[90:91], s[16:17], -v[64:65]
	v_mul_f64_e32 v[64:65], s[38:39], v[118:119]
	s_delay_alu instid0(VALU_DEP_4) | instskip(SKIP_1) | instid1(VALU_DEP_4)
	v_add_f64_e32 v[4:5], v[6:7], v[4:5]
	v_fma_f64 v[6:7], v[92:93], s[56:57], v[66:67]
	v_add_f64_e32 v[12:13], v[14:15], v[12:13]
	v_fma_f64 v[14:15], v[92:93], s[20:21], v[66:67]
	v_mul_f64_e32 v[66:67], s[40:41], v[116:117]
	s_delay_alu instid0(VALU_DEP_4) | instskip(SKIP_1) | instid1(VALU_DEP_4)
	v_add_f64_e32 v[2:3], v[6:7], v[2:3]
	v_fma_f64 v[6:7], v[94:95], s[24:25], v[172:173]
	v_add_f64_e32 v[0:1], v[14:15], v[0:1]
	v_fma_f64 v[14:15], v[94:95], s[24:25], -v[172:173]
	v_mul_f64_e32 v[172:173], s[54:55], v[120:121]
	s_delay_alu instid0(VALU_DEP_4) | instskip(SKIP_1) | instid1(VALU_DEP_4)
	v_add_f64_e32 v[4:5], v[6:7], v[4:5]
	v_fma_f64 v[6:7], v[96:97], s[26:27], v[174:175]
	v_add_f64_e32 v[12:13], v[14:15], v[12:13]
	v_fma_f64 v[14:15], v[96:97], s[48:49], v[174:175]
	v_mul_f64_e32 v[174:175], s[24:25], v[126:127]
	s_delay_alu instid0(VALU_DEP_4) | instskip(SKIP_1) | instid1(VALU_DEP_4)
	v_add_f64_e32 v[6:7], v[6:7], v[2:3]
	v_mul_f64_e32 v[2:3], s[48:49], v[124:125]
	v_add_f64_e32 v[14:15], v[14:15], v[0:1]
	v_mul_f64_e32 v[0:1], s[16:17], v[102:103]
	s_delay_alu instid0(VALU_DEP_3) | instskip(SKIP_1) | instid1(VALU_DEP_2)
	v_fma_f64 v[176:177], v[100:101], s[22:23], v[2:3]
	v_fma_f64 v[2:3], v[100:101], s[22:23], -v[2:3]
	v_add_f64_e32 v[4:5], v[176:177], v[4:5]
	s_delay_alu instid0(VALU_DEP_2) | instskip(SKIP_2) | instid1(VALU_DEP_2)
	v_add_f64_e32 v[12:13], v[2:3], v[12:13]
	v_fma_f64 v[2:3], v[72:73], s[10:11], v[0:1]
	v_fma_f64 v[0:1], v[72:73], s[50:51], v[0:1]
	v_add_f64_e32 v[2:3], v[2:3], v[68:69]
	s_delay_alu instid0(VALU_DEP_2) | instskip(SKIP_2) | instid1(VALU_DEP_4)
	v_add_f64_e32 v[0:1], v[0:1], v[70:71]
	v_mul_f64_e32 v[68:69], s[18:19], v[122:123]
	v_mul_f64_e32 v[70:71], s[30:31], v[106:107]
	v_add_f64_e32 v[2:3], v[22:23], v[2:3]
	v_fma_f64 v[22:23], v[78:79], s[22:23], v[36:37]
	v_add_f64_e32 v[0:1], v[26:27], v[0:1]
	v_fma_f64 v[26:27], v[78:79], s[22:23], -v[36:37]
	v_mul_f64_e32 v[36:37], s[16:17], v[106:107]
	s_delay_alu instid0(VALU_DEP_4) | instskip(SKIP_1) | instid1(VALU_DEP_4)
	v_add_f64_e32 v[20:21], v[22:23], v[20:21]
	v_fma_f64 v[22:23], v[80:81], s[34:35], v[38:39]
	v_add_f64_e32 v[24:25], v[26:27], v[24:25]
	v_fma_f64 v[26:27], v[80:81], s[44:45], v[38:39]
	v_add_f64_e32 v[36:37], v[134:135], v[36:37]
	v_mul_f64_e32 v[38:39], s[16:17], v[78:79]
	v_mul_f64_e32 v[134:135], s[36:37], v[114:115]
	v_add_f64_e32 v[2:3], v[22:23], v[2:3]
	v_fma_f64 v[22:23], v[82:83], s[30:31], v[50:51]
	v_add_f64_e32 v[0:1], v[26:27], v[0:1]
	v_fma_f64 v[26:27], v[82:83], s[30:31], -v[50:51]
	v_add_f64_e64 v[38:39], v[38:39], -v[132:133]
	v_mul_f64_e32 v[50:51], s[22:23], v[82:83]
	v_mul_f64_e32 v[132:133], s[40:41], v[108:109]
	v_add_f64_e32 v[20:21], v[22:23], v[20:21]
	v_fma_f64 v[22:23], v[84:85], s[52:53], v[52:53]
	v_add_f64_e32 v[24:25], v[26:27], v[24:25]
	v_fma_f64 v[26:27], v[84:85], s[0:1], v[52:53]
	v_mul_f64_e32 v[52:53], s[24:25], v[114:115]
	v_add_f64_e64 v[50:51], v[50:51], -v[136:137]
	v_mul_f64_e32 v[136:137], s[46:47], v[112:113]
	v_add_f64_e32 v[2:3], v[22:23], v[2:3]
	v_fma_f64 v[22:23], v[86:87], s[6:7], v[54:55]
	v_add_f64_e32 v[0:1], v[26:27], v[0:1]
	v_fma_f64 v[26:27], v[86:87], s[6:7], -v[54:55]
	v_add_f64_e32 v[52:53], v[142:143], v[52:53]
	v_mul_f64_e32 v[54:55], s[24:25], v[86:87]
	v_mul_f64_e32 v[142:143], s[16:17], v[122:123]
	v_add_f64_e32 v[20:21], v[22:23], v[20:21]
	v_fma_f64 v[22:23], v[88:89], s[42:43], v[64:65]
	v_add_f64_e32 v[24:25], v[26:27], v[24:25]
	v_fma_f64 v[26:27], v[88:89], s[40:41], v[64:65]
	v_mul_f64_e32 v[64:65], s[30:31], v[118:119]
	v_add_f64_e64 v[54:55], v[54:55], -v[140:141]
	v_mul_f64_e32 v[140:141], s[56:57], v[116:117]
	v_add_f64_e32 v[2:3], v[22:23], v[2:3]
	v_fma_f64 v[22:23], v[90:91], s[38:39], v[66:67]
	v_add_f64_e32 v[0:1], v[26:27], v[0:1]
	v_fma_f64 v[26:27], v[90:91], s[38:39], -v[66:67]
	v_add_f64_e32 v[64:65], v[146:147], v[64:65]
	v_mul_f64_e32 v[146:147], s[6:7], v[126:127]
	v_mul_f64_e32 v[66:67], s[34:35], v[98:99]
	v_add_f64_e32 v[20:21], v[22:23], v[20:21]
	v_fma_f64 v[22:23], v[92:93], s[14:15], v[68:69]
	v_add_f64_e32 v[24:25], v[26:27], v[24:25]
	v_fma_f64 v[26:27], v[92:93], s[54:55], v[68:69]
	v_mul_f64_e32 v[68:69], s[26:27], v[98:99]
	s_delay_alu instid0(VALU_DEP_4) | instskip(SKIP_1) | instid1(VALU_DEP_4)
	v_add_f64_e32 v[2:3], v[22:23], v[2:3]
	v_fma_f64 v[22:23], v[94:95], s[18:19], v[172:173]
	v_add_f64_e32 v[0:1], v[26:27], v[0:1]
	v_fma_f64 v[26:27], v[94:95], s[18:19], -v[172:173]
	v_mul_f64_e32 v[172:173], s[18:19], v[114:115]
	s_delay_alu instid0(VALU_DEP_4) | instskip(SKIP_1) | instid1(VALU_DEP_4)
	v_add_f64_e32 v[20:21], v[22:23], v[20:21]
	v_fma_f64 v[22:23], v[96:97], s[56:57], v[174:175]
	v_add_f64_e32 v[24:25], v[26:27], v[24:25]
	v_fma_f64 v[26:27], v[96:97], s[20:21], v[174:175]
	v_mul_f64_e32 v[174:175], s[54:55], v[112:113]
	s_delay_alu instid0(VALU_DEP_4) | instskip(SKIP_1) | instid1(VALU_DEP_4)
	v_add_f64_e32 v[22:23], v[22:23], v[2:3]
	v_mul_f64_e32 v[2:3], s[20:21], v[124:125]
	v_add_f64_e32 v[26:27], v[26:27], v[0:1]
	v_mul_f64_e32 v[0:1], s[18:19], v[102:103]
	s_delay_alu instid0(VALU_DEP_3) | instskip(SKIP_1) | instid1(VALU_DEP_3)
	v_fma_f64 v[176:177], v[100:101], s[24:25], v[2:3]
	v_fma_f64 v[2:3], v[100:101], s[24:25], -v[2:3]
	v_add_f64_e32 v[0:1], v[130:131], v[0:1]
	v_mul_f64_e32 v[130:131], s[38:39], v[110:111]
	s_delay_alu instid0(VALU_DEP_4) | instskip(NEXT) | instid1(VALU_DEP_4)
	v_add_f64_e32 v[20:21], v[176:177], v[20:21]
	v_add_f64_e32 v[24:25], v[2:3], v[24:25]
	v_mul_f64_e32 v[2:3], s[18:19], v[74:75]
	v_add_f64_e32 v[0:1], v[0:1], v[28:29]
	v_mul_f64_e32 v[28:29], s[30:31], v[90:91]
	v_mul_f64_e32 v[176:177], s[6:7], v[118:119]
	s_delay_alu instid0(VALU_DEP_4) | instskip(NEXT) | instid1(VALU_DEP_4)
	v_add_f64_e64 v[2:3], v[2:3], -v[128:129]
	v_add_f64_e32 v[0:1], v[36:37], v[0:1]
	s_delay_alu instid0(VALU_DEP_4)
	v_add_f64_e64 v[28:29], v[28:29], -v[144:145]
	v_mul_f64_e32 v[36:37], s[36:37], v[94:95]
	v_mul_f64_e32 v[128:129], s[34:35], v[104:105]
	;; [unrolled: 1-line block ×3, first 2 shown]
	v_add_f64_e32 v[2:3], v[2:3], v[30:31]
	v_add_f64_e32 v[0:1], v[40:41], v[0:1]
	v_mul_f64_e32 v[30:31], s[36:37], v[122:123]
	v_add_f64_e64 v[36:37], v[36:37], -v[148:149]
	v_mul_f64_e32 v[148:149], s[38:39], v[106:107]
	v_add_f64_e32 v[2:3], v[38:39], v[2:3]
	v_add_f64_e32 v[0:1], v[52:53], v[0:1]
	;; [unrolled: 1-line block ×3, first 2 shown]
	v_mul_f64_e32 v[38:39], s[38:39], v[126:127]
	v_fma_f64 v[40:41], v[76:77], s[42:43], v[148:149]
	v_mul_f64_e32 v[150:151], s[42:43], v[104:105]
	v_mul_f64_e32 v[52:53], s[24:25], v[102:103]
	v_add_f64_e32 v[2:3], v[50:51], v[2:3]
	v_add_f64_e32 v[0:1], v[64:65], v[0:1]
	v_mul_f64_e32 v[64:65], s[30:31], v[102:103]
	v_add_f64_e32 v[38:39], v[156:157], v[38:39]
	v_mul_f64_e32 v[156:157], s[56:57], v[108:109]
	v_add_f64_e32 v[2:3], v[54:55], v[2:3]
	v_add_f64_e32 v[0:1], v[30:31], v[0:1]
	v_mul_f64_e32 v[54:55], s[56:57], v[98:99]
	s_delay_alu instid0(VALU_DEP_3) | instskip(SKIP_1) | instid1(VALU_DEP_4)
	v_add_f64_e32 v[2:3], v[28:29], v[2:3]
	v_mul_f64_e32 v[28:29], s[38:39], v[100:101]
	v_add_f64_e32 v[30:31], v[38:39], v[0:1]
	v_mul_f64_e32 v[0:1], s[22:23], v[102:103]
	v_fma_f64 v[38:39], v[74:75], s[30:31], -v[66:67]
	v_fma_f64 v[50:51], v[74:75], s[24:25], -v[54:55]
	v_fma_f64 v[54:55], v[74:75], s[24:25], v[54:55]
	v_fma_f64 v[66:67], v[74:75], s[30:31], v[66:67]
	v_add_f64_e32 v[2:3], v[36:37], v[2:3]
	v_add_f64_e64 v[28:29], v[28:29], -v[154:155]
	v_mul_f64_e32 v[154:155], s[24:25], v[110:111]
	v_add_f64_e32 v[38:39], v[38:39], v[48:49]
	v_add_f64_e32 v[50:51], v[50:51], v[160:161]
	;; [unrolled: 1-line block ×5, first 2 shown]
	v_fma_f64 v[2:3], v[72:73], s[26:27], v[0:1]
	v_fma_f64 v[0:1], v[72:73], s[48:49], v[0:1]
	s_delay_alu instid0(VALU_DEP_2) | instskip(SKIP_2) | instid1(VALU_DEP_4)
	v_add_f64_e32 v[2:3], v[2:3], v[32:33]
	v_fma_f64 v[32:33], v[74:75], s[22:23], -v[68:69]
	v_fma_f64 v[68:69], v[74:75], s[22:23], v[68:69]
	v_add_f64_e32 v[0:1], v[0:1], v[18:19]
	v_fma_f64 v[18:19], v[78:79], s[30:31], v[128:129]
	s_delay_alu instid0(VALU_DEP_4) | instskip(SKIP_4) | instid1(VALU_DEP_4)
	v_add_f64_e32 v[32:33], v[32:33], v[34:35]
	v_fma_f64 v[34:35], v[76:77], s[34:35], v[70:71]
	v_fma_f64 v[70:71], v[76:77], s[44:45], v[70:71]
	v_add_f64_e32 v[16:17], v[68:69], v[16:17]
	v_fma_f64 v[68:69], v[80:81], s[42:43], v[130:131]
	v_add_f64_e32 v[2:3], v[34:35], v[2:3]
	v_fma_f64 v[34:35], v[78:79], s[30:31], -v[128:129]
	v_add_f64_e32 v[0:1], v[70:71], v[0:1]
	v_fma_f64 v[70:71], v[82:83], s[38:39], v[132:133]
	v_add_f64_e32 v[16:17], v[18:19], v[16:17]
	v_fma_f64 v[18:19], v[84:85], s[28:29], v[134:135]
	;; [unrolled: 2-line block ×5, first 2 shown]
	v_add_f64_e32 v[2:3], v[34:35], v[2:3]
	v_fma_f64 v[34:35], v[82:83], s[38:39], -v[132:133]
	v_add_f64_e32 v[0:1], v[18:19], v[0:1]
	v_fma_f64 v[18:19], v[90:91], s[24:25], v[140:141]
	v_add_f64_e32 v[16:17], v[68:69], v[16:17]
	v_fma_f64 v[68:69], v[92:93], s[10:11], v[142:143]
	;; [unrolled: 2-line block ×5, first 2 shown]
	v_add_f64_e32 v[2:3], v[34:35], v[2:3]
	v_fma_f64 v[34:35], v[86:87], s[36:37], -v[136:137]
	v_add_f64_e32 v[0:1], v[68:69], v[0:1]
	v_add_f64_e32 v[16:17], v[70:71], v[16:17]
	s_delay_alu instid0(VALU_DEP_3) | instskip(SKIP_1) | instid1(VALU_DEP_4)
	v_add_f64_e32 v[32:33], v[34:35], v[32:33]
	v_fma_f64 v[34:35], v[88:89], s[56:57], v[138:139]
	v_add_f64_e32 v[18:19], v[18:19], v[0:1]
	v_mul_lo_u16 v0, v200, 17
	s_delay_alu instid0(VALU_DEP_1) | instskip(NEXT) | instid1(VALU_DEP_1)
	v_and_b32_e32 v0, 0xffff, v0
	v_add_lshl_u32 v0, v233, v0, 4
	v_add_f64_e32 v[2:3], v[34:35], v[2:3]
	v_fma_f64 v[34:35], v[90:91], s[24:25], -v[140:141]
	s_delay_alu instid0(VALU_DEP_1) | instskip(SKIP_1) | instid1(VALU_DEP_1)
	v_add_f64_e32 v[32:33], v[34:35], v[32:33]
	v_fma_f64 v[34:35], v[92:93], s[50:51], v[142:143]
	v_add_f64_e32 v[2:3], v[34:35], v[2:3]
	v_fma_f64 v[34:35], v[94:95], s[16:17], -v[144:145]
	s_delay_alu instid0(VALU_DEP_1) | instskip(SKIP_1) | instid1(VALU_DEP_1)
	v_add_f64_e32 v[32:33], v[34:35], v[32:33]
	v_fma_f64 v[34:35], v[96:97], s[52:53], v[146:147]
	v_add_f64_e32 v[34:35], v[34:35], v[2:3]
	v_mul_f64_e32 v[2:3], s[52:53], v[124:125]
	v_mul_f64_e32 v[124:125], s[50:51], v[124:125]
	s_delay_alu instid0(VALU_DEP_2) | instskip(SKIP_1) | instid1(VALU_DEP_2)
	v_fma_f64 v[36:37], v[100:101], s[6:7], -v[2:3]
	v_fma_f64 v[2:3], v[100:101], s[6:7], v[2:3]
	v_add_f64_e32 v[32:33], v[36:37], v[32:33]
	v_fma_f64 v[36:37], v[72:73], s[34:35], v[64:65]
	v_fma_f64 v[64:65], v[72:73], s[44:45], v[64:65]
	s_delay_alu instid0(VALU_DEP_4) | instskip(NEXT) | instid1(VALU_DEP_3)
	v_add_f64_e32 v[16:17], v[2:3], v[16:17]
	v_add_f64_e32 v[36:37], v[36:37], v[62:63]
	v_mul_f64_e32 v[62:63], s[38:39], v[102:103]
	s_delay_alu instid0(VALU_DEP_4) | instskip(NEXT) | instid1(VALU_DEP_3)
	v_add_f64_e32 v[64:65], v[64:65], v[168:169]
	v_add_f64_e32 v[36:37], v[40:41], v[36:37]
	v_fma_f64 v[40:41], v[78:79], s[38:39], -v[150:151]
	s_delay_alu instid0(VALU_DEP_1) | instskip(SKIP_1) | instid1(VALU_DEP_1)
	v_add_f64_e32 v[38:39], v[40:41], v[38:39]
	v_fma_f64 v[40:41], v[80:81], s[56:57], v[154:155]
	v_add_f64_e32 v[36:37], v[40:41], v[36:37]
	v_fma_f64 v[40:41], v[82:83], s[24:25], -v[156:157]
	s_delay_alu instid0(VALU_DEP_1) | instskip(SKIP_1) | instid1(VALU_DEP_1)
	v_add_f64_e32 v[38:39], v[40:41], v[38:39]
	v_fma_f64 v[40:41], v[84:85], s[54:55], v[172:173]
	;; [unrolled: 5-line block ×5, first 2 shown]
	v_add_f64_e32 v[38:39], v[38:39], v[36:37]
	v_fma_f64 v[36:37], v[100:101], s[36:37], -v[186:187]
	s_delay_alu instid0(VALU_DEP_1) | instskip(SKIP_2) | instid1(VALU_DEP_2)
	v_add_f64_e32 v[36:37], v[36:37], v[40:41]
	v_fma_f64 v[40:41], v[72:73], s[40:41], v[62:63]
	v_fma_f64 v[62:63], v[72:73], s[42:43], v[62:63]
	v_add_f64_e32 v[40:41], v[40:41], v[42:43]
	v_fma_f64 v[42:43], v[74:75], s[38:39], -v[188:189]
	s_delay_alu instid0(VALU_DEP_3) | instskip(NEXT) | instid1(VALU_DEP_2)
	v_add_f64_e32 v[62:63], v[62:63], v[166:167]
	v_add_f64_e32 v[42:43], v[42:43], v[46:47]
	v_fma_f64 v[46:47], v[76:77], s[56:57], v[190:191]
	s_delay_alu instid0(VALU_DEP_1) | instskip(SKIP_1) | instid1(VALU_DEP_1)
	v_add_f64_e32 v[40:41], v[46:47], v[40:41]
	v_fma_f64 v[46:47], v[78:79], s[24:25], -v[192:193]
	v_add_f64_e32 v[42:43], v[46:47], v[42:43]
	v_fma_f64 v[46:47], v[80:81], s[52:53], v[194:195]
	s_delay_alu instid0(VALU_DEP_1) | instskip(SKIP_1) | instid1(VALU_DEP_1)
	v_add_f64_e32 v[40:41], v[46:47], v[40:41]
	v_fma_f64 v[46:47], v[82:83], s[6:7], -v[196:197]
	;; [unrolled: 5-line block ×6, first 2 shown]
	v_add_f64_e32 v[40:41], v[40:41], v[46:47]
	v_fma_f64 v[46:47], v[72:73], s[46:47], v[217:218]
	s_delay_alu instid0(VALU_DEP_1) | instskip(SKIP_2) | instid1(VALU_DEP_2)
	v_add_f64_e32 v[46:47], v[46:47], v[164:165]
	v_mul_f64_e32 v[164:165], s[46:47], v[98:99]
	v_mul_f64_e32 v[98:99], s[6:7], v[106:107]
	v_fma_f64 v[48:49], v[74:75], s[36:37], -v[164:165]
	s_delay_alu instid0(VALU_DEP_2) | instskip(SKIP_2) | instid1(VALU_DEP_4)
	v_fma_f64 v[102:103], v[76:77], s[0:1], v[98:99]
	v_fma_f64 v[56:57], v[76:77], s[52:53], v[98:99]
	;; [unrolled: 1-line block ×3, first 2 shown]
	v_add_f64_e32 v[44:45], v[48:49], v[44:45]
	v_fma_f64 v[48:49], v[76:77], s[54:55], v[219:220]
	s_delay_alu instid0(VALU_DEP_1) | instskip(SKIP_1) | instid1(VALU_DEP_1)
	v_add_f64_e32 v[46:47], v[48:49], v[46:47]
	v_fma_f64 v[48:49], v[78:79], s[18:19], -v[221:222]
	v_add_f64_e32 v[44:45], v[48:49], v[44:45]
	v_fma_f64 v[48:49], v[80:81], s[10:11], v[223:224]
	s_delay_alu instid0(VALU_DEP_1) | instskip(SKIP_1) | instid1(VALU_DEP_1)
	v_add_f64_e32 v[46:47], v[48:49], v[46:47]
	v_fma_f64 v[48:49], v[82:83], s[16:17], -v[225:226]
	;; [unrolled: 5-line block ×6, first 2 shown]
	v_add_f64_e32 v[44:45], v[48:49], v[44:45]
	v_fma_f64 v[48:49], v[72:73], s[56:57], v[52:53]
	v_fma_f64 v[52:53], v[72:73], s[20:21], v[52:53]
	s_delay_alu instid0(VALU_DEP_2) | instskip(NEXT) | instid1(VALU_DEP_2)
	v_add_f64_e32 v[48:49], v[48:49], v[158:159]
	v_add_f64_e32 v[52:53], v[52:53], v[152:153]
	s_delay_alu instid0(VALU_DEP_2) | instskip(SKIP_1) | instid1(VALU_DEP_3)
	v_add_f64_e32 v[48:49], v[102:103], v[48:49]
	v_mul_f64_e32 v[102:103], s[0:1], v[104:105]
	v_add_f64_e32 v[52:53], v[56:57], v[52:53]
	s_delay_alu instid0(VALU_DEP_2) | instskip(SKIP_2) | instid1(VALU_DEP_3)
	v_fma_f64 v[104:105], v[78:79], s[6:7], -v[102:103]
	v_fma_f64 v[56:57], v[78:79], s[6:7], v[102:103]
	v_fma_f64 v[102:103], v[100:101], s[30:31], v[242:243]
	v_add_f64_e32 v[50:51], v[104:105], v[50:51]
	v_mul_f64_e32 v[104:105], s[36:37], v[110:111]
	s_delay_alu instid0(VALU_DEP_4) | instskip(NEXT) | instid1(VALU_DEP_2)
	v_add_f64_e32 v[54:55], v[56:57], v[54:55]
	v_fma_f64 v[106:107], v[80:81], s[28:29], v[104:105]
	v_fma_f64 v[56:57], v[80:81], s[46:47], v[104:105]
	s_delay_alu instid0(VALU_DEP_2) | instskip(SKIP_1) | instid1(VALU_DEP_3)
	v_add_f64_e32 v[48:49], v[106:107], v[48:49]
	v_mul_f64_e32 v[106:107], s[28:29], v[108:109]
	v_add_f64_e32 v[52:53], v[56:57], v[52:53]
	s_delay_alu instid0(VALU_DEP_2) | instskip(SKIP_1) | instid1(VALU_DEP_2)
	v_fma_f64 v[108:109], v[82:83], s[36:37], -v[106:107]
	v_fma_f64 v[56:57], v[82:83], s[36:37], v[106:107]
	v_add_f64_e32 v[50:51], v[108:109], v[50:51]
	v_mul_f64_e32 v[108:109], s[22:23], v[114:115]
	s_delay_alu instid0(VALU_DEP_3) | instskip(NEXT) | instid1(VALU_DEP_2)
	v_add_f64_e32 v[54:55], v[56:57], v[54:55]
	v_fma_f64 v[110:111], v[84:85], s[48:49], v[108:109]
	v_fma_f64 v[56:57], v[84:85], s[26:27], v[108:109]
	s_delay_alu instid0(VALU_DEP_2) | instskip(SKIP_1) | instid1(VALU_DEP_3)
	v_add_f64_e32 v[48:49], v[110:111], v[48:49]
	v_mul_f64_e32 v[110:111], s[48:49], v[112:113]
	v_add_f64_e32 v[52:53], v[56:57], v[52:53]
	s_delay_alu instid0(VALU_DEP_2) | instskip(SKIP_1) | instid1(VALU_DEP_2)
	v_fma_f64 v[112:113], v[86:87], s[22:23], -v[110:111]
	v_fma_f64 v[56:57], v[86:87], s[22:23], v[110:111]
	v_add_f64_e32 v[50:51], v[112:113], v[50:51]
	v_mul_f64_e32 v[112:113], s[18:19], v[118:119]
	s_delay_alu instid0(VALU_DEP_3) | instskip(NEXT) | instid1(VALU_DEP_2)
	v_add_f64_e32 v[54:55], v[56:57], v[54:55]
	v_fma_f64 v[114:115], v[88:89], s[14:15], v[112:113]
	v_fma_f64 v[56:57], v[88:89], s[54:55], v[112:113]
	s_delay_alu instid0(VALU_DEP_2) | instskip(SKIP_1) | instid1(VALU_DEP_3)
	v_add_f64_e32 v[48:49], v[114:115], v[48:49]
	v_mul_f64_e32 v[114:115], s[14:15], v[116:117]
	v_add_f64_e32 v[52:53], v[56:57], v[52:53]
	s_delay_alu instid0(VALU_DEP_2) | instskip(SKIP_1) | instid1(VALU_DEP_2)
	v_fma_f64 v[116:117], v[90:91], s[18:19], -v[114:115]
	v_fma_f64 v[56:57], v[90:91], s[18:19], v[114:115]
	v_add_f64_e32 v[50:51], v[116:117], v[50:51]
	v_mul_f64_e32 v[116:117], s[38:39], v[122:123]
	s_delay_alu instid0(VALU_DEP_3) | instskip(SKIP_1) | instid1(VALU_DEP_3)
	v_add_f64_e32 v[54:55], v[56:57], v[54:55]
	v_mul_f64_e32 v[122:123], s[16:17], v[126:127]
	v_fma_f64 v[118:119], v[92:93], s[40:41], v[116:117]
	v_fma_f64 v[56:57], v[92:93], s[42:43], v[116:117]
	s_delay_alu instid0(VALU_DEP_2) | instskip(SKIP_1) | instid1(VALU_DEP_3)
	v_add_f64_e32 v[48:49], v[118:119], v[48:49]
	v_mul_f64_e32 v[118:119], s[40:41], v[120:121]
	v_add_f64_e32 v[52:53], v[56:57], v[52:53]
	s_delay_alu instid0(VALU_DEP_2) | instskip(SKIP_1) | instid1(VALU_DEP_2)
	v_fma_f64 v[56:57], v[94:95], s[38:39], v[118:119]
	v_fma_f64 v[120:121], v[94:95], s[38:39], -v[118:119]
	v_add_f64_e32 v[56:57], v[56:57], v[54:55]
	v_fma_f64 v[54:55], v[96:97], s[10:11], v[122:123]
	s_delay_alu instid0(VALU_DEP_3) | instskip(SKIP_1) | instid1(VALU_DEP_3)
	v_add_f64_e32 v[120:121], v[120:121], v[50:51]
	v_fma_f64 v[50:51], v[96:97], s[50:51], v[122:123]
	v_add_f64_e32 v[54:55], v[54:55], v[52:53]
	v_add_f64_e32 v[52:53], v[98:99], v[56:57]
	v_fma_f64 v[56:57], v[72:73], s[28:29], v[217:218]
	v_fma_f64 v[98:99], v[74:75], s[36:37], v[164:165]
	v_add_f64_e32 v[50:51], v[50:51], v[48:49]
	v_fma_f64 v[48:49], v[100:101], s[16:17], -v[124:125]
	s_delay_alu instid0(VALU_DEP_4) | instskip(NEXT) | instid1(VALU_DEP_4)
	v_add_f64_e32 v[56:57], v[56:57], v[162:163]
	v_add_f64_e32 v[58:59], v[98:99], v[58:59]
	v_fma_f64 v[98:99], v[76:77], s[14:15], v[219:220]
	s_delay_alu instid0(VALU_DEP_4) | instskip(NEXT) | instid1(VALU_DEP_2)
	v_add_f64_e32 v[48:49], v[48:49], v[120:121]
	v_add_f64_e32 v[56:57], v[98:99], v[56:57]
	v_fma_f64 v[98:99], v[78:79], s[18:19], v[221:222]
	s_delay_alu instid0(VALU_DEP_1) | instskip(SKIP_1) | instid1(VALU_DEP_1)
	v_add_f64_e32 v[58:59], v[98:99], v[58:59]
	v_fma_f64 v[98:99], v[80:81], s[50:51], v[223:224]
	v_add_f64_e32 v[56:57], v[98:99], v[56:57]
	v_fma_f64 v[98:99], v[82:83], s[16:17], v[225:226]
	s_delay_alu instid0(VALU_DEP_1) | instskip(SKIP_1) | instid1(VALU_DEP_1)
	v_add_f64_e32 v[58:59], v[98:99], v[58:59]
	v_fma_f64 v[98:99], v[84:85], s[42:43], v[227:228]
	;; [unrolled: 5-line block ×4, first 2 shown]
	v_add_f64_e32 v[56:57], v[98:99], v[56:57]
	v_fma_f64 v[98:99], v[94:95], s[6:7], v[238:239]
	v_mov_b32_e32 v239, v244
	s_delay_alu instid0(VALU_DEP_2) | instskip(SKIP_1) | instid1(VALU_DEP_1)
	v_add_f64_e32 v[98:99], v[98:99], v[58:59]
	v_fma_f64 v[58:59], v[96:97], s[44:45], v[240:241]
	v_add_f64_e32 v[58:59], v[58:59], v[56:57]
	s_delay_alu instid0(VALU_DEP_3) | instskip(SKIP_2) | instid1(VALU_DEP_2)
	v_add_f64_e32 v[56:57], v[102:103], v[98:99]
	v_fma_f64 v[98:99], v[74:75], s[38:39], v[188:189]
	v_fma_f64 v[102:103], v[100:101], s[18:19], v[215:216]
	v_add_f64_e32 v[60:61], v[98:99], v[60:61]
	v_fma_f64 v[98:99], v[76:77], s[20:21], v[190:191]
	s_delay_alu instid0(VALU_DEP_1) | instskip(SKIP_1) | instid1(VALU_DEP_1)
	v_add_f64_e32 v[62:63], v[98:99], v[62:63]
	v_fma_f64 v[98:99], v[78:79], s[24:25], v[192:193]
	v_add_f64_e32 v[60:61], v[98:99], v[60:61]
	v_fma_f64 v[98:99], v[80:81], s[0:1], v[194:195]
	s_delay_alu instid0(VALU_DEP_1) | instskip(SKIP_1) | instid1(VALU_DEP_1)
	v_add_f64_e32 v[62:63], v[98:99], v[62:63]
	;; [unrolled: 5-line block ×5, first 2 shown]
	v_fma_f64 v[98:99], v[94:95], s[30:31], v[209:210]
	v_add_f64_e32 v[60:61], v[98:99], v[60:61]
	v_fma_f64 v[98:99], v[96:97], s[14:15], v[211:212]
	s_delay_alu instid0(VALU_DEP_2) | instskip(NEXT) | instid1(VALU_DEP_2)
	v_add_f64_e32 v[60:61], v[102:103], v[60:61]
	v_add_f64_e32 v[62:63], v[98:99], v[62:63]
	v_fma_f64 v[98:99], v[76:77], s[40:41], v[148:149]
	v_fma_f64 v[102:103], v[100:101], s[36:37], v[186:187]
	s_delay_alu instid0(VALU_DEP_2) | instskip(SKIP_1) | instid1(VALU_DEP_1)
	v_add_f64_e32 v[64:65], v[98:99], v[64:65]
	v_fma_f64 v[98:99], v[78:79], s[38:39], v[150:151]
	v_add_f64_e32 v[66:67], v[98:99], v[66:67]
	v_fma_f64 v[98:99], v[80:81], s[20:21], v[154:155]
	s_delay_alu instid0(VALU_DEP_1) | instskip(SKIP_1) | instid1(VALU_DEP_1)
	v_add_f64_e32 v[64:65], v[98:99], v[64:65]
	v_fma_f64 v[98:99], v[82:83], s[24:25], v[156:157]
	v_add_f64_e32 v[66:67], v[98:99], v[66:67]
	v_fma_f64 v[98:99], v[84:85], s[14:15], v[172:173]
	s_delay_alu instid0(VALU_DEP_1) | instskip(SKIP_1) | instid1(VALU_DEP_1)
	;; [unrolled: 5-line block ×4, first 2 shown]
	v_add_f64_e32 v[64:65], v[98:99], v[64:65]
	v_fma_f64 v[98:99], v[94:95], s[22:23], v[182:183]
	v_add_f64_e32 v[98:99], v[98:99], v[66:67]
	v_fma_f64 v[66:67], v[96:97], s[46:47], v[184:185]
	s_delay_alu instid0(VALU_DEP_1) | instskip(NEXT) | instid1(VALU_DEP_3)
	v_add_f64_e32 v[66:67], v[66:67], v[64:65]
	v_add_f64_e32 v[64:65], v[102:103], v[98:99]
	ds_store_b128 v0, v[8:11]
	ds_store_b128 v0, v[28:31] offset:16
	ds_store_b128 v0, v[32:35] offset:32
	;; [unrolled: 1-line block ×16, first 2 shown]
.LBB0_7:
	s_or_b32 exec_lo, exec_lo, s33
	v_and_b32_e32 v0, 0xff, v200
	v_add_nc_u16 v1, v200, 0x44
	v_add_nc_u32_e32 v52, 0xcc, v200
	v_add_nc_u16 v53, v200, 0x88
	s_load_b128 s[0:3], s[2:3], 0x0
	v_mul_lo_u16 v0, 0xf1, v0
	v_and_b32_e32 v2, 0xff, v1
	v_and_b32_e32 v3, 0xffff, v52
	;; [unrolled: 1-line block ×3, first 2 shown]
	global_wb scope:SCOPE_SE
	s_wait_dscnt 0x0
	v_lshrrev_b16 v63, 12, v0
	v_mul_lo_u16 v0, 0xf1, v2
	v_mul_u32_u24_e32 v62, 0xf0f1, v3
	v_mul_lo_u16 v2, 0xf1, v61
	s_wait_kmcnt 0x0
	s_barrier_signal -1
	v_mul_lo_u16 v3, v63, 17
	v_lshrrev_b16 v59, 12, v0
	v_lshrrev_b32_e32 v54, 20, v62
	v_lshrrev_b16 v56, 12, v2
	s_barrier_wait -1
	v_sub_nc_u16 v0, v200, v3
	v_mul_lo_u16 v2, v59, 17
	v_mul_lo_u16 v4, v54, 17
	v_mul_lo_u16 v3, v56, 17
	global_inv scope:SCOPE_SE
	v_and_b32_e32 v55, 0xff, v0
	v_sub_nc_u16 v2, v1, v2
	v_sub_nc_u16 v58, v52, v4
	;; [unrolled: 1-line block ×3, first 2 shown]
	v_add_lshl_u32 v231, v233, v200, 4
	v_mad_co_u64_u32 v[0:1], null, v55, 48, s[4:5]
	v_and_b32_e32 v57, 0xff, v2
	v_mul_lo_u16 v6, v58, 48
	v_and_b32_e32 v60, 0xff, v3
	v_lshlrev_b32_e32 v240, 4, v200
	v_lshl_add_u32 v234, v200, 4, v252
	v_mad_co_u64_u32 v[2:3], null, v57, 48, s[4:5]
	s_clause 0x2
	global_load_b128 v[140:143], v[0:1], off
	global_load_b128 v[48:51], v[0:1], off offset:16
	global_load_b128 v[36:39], v[0:1], off offset:32
	v_and_b32_e32 v0, 0xffff, v6
	v_mad_co_u64_u32 v[4:5], null, v60, 48, s[4:5]
	s_clause 0x3
	global_load_b128 v[44:47], v[2:3], off
	global_load_b128 v[20:23], v[2:3], off offset:32
	global_load_b128 v[40:43], v[2:3], off offset:16
	global_load_b128 v[28:31], v[4:5], off
	v_add_co_u32 v0, s6, s4, v0
	s_wait_alu 0xf1ff
	v_add_co_ci_u32_e64 v1, null, s5, 0, s6
	s_clause 0x4
	global_load_b128 v[32:35], v[4:5], off offset:16
	global_load_b128 v[24:27], v[4:5], off offset:32
	global_load_b128 v[152:155], v[0:1], off
	global_load_b128 v[148:151], v[0:1], off offset:16
	global_load_b128 v[144:147], v[0:1], off offset:32
	ds_load_b128 v[64:67], v231 offset:4352
	ds_load_b128 v[68:71], v231 offset:8704
	;; [unrolled: 1-line block ×12, first 2 shown]
	s_wait_loadcnt_dscnt 0xa0a
	v_mul_f64_e32 v[4:5], v[70:71], v[50:51]
	v_mul_f64_e32 v[0:1], v[66:67], v[142:143]
	s_wait_loadcnt_dscnt 0x909
	v_mul_f64_e32 v[8:9], v[74:75], v[38:39]
	v_mul_f64_e32 v[2:3], v[64:65], v[142:143]
	;; [unrolled: 1-line block ×4, first 2 shown]
	s_wait_loadcnt_dscnt 0x706
	v_mul_f64_e32 v[112:113], v[86:87], v[22:23]
	s_wait_loadcnt 0x6
	v_mul_f64_e32 v[16:17], v[82:83], v[42:43]
	v_mul_f64_e32 v[18:19], v[80:81], v[42:43]
	;; [unrolled: 1-line block ×3, first 2 shown]
	s_wait_loadcnt_dscnt 0x505
	v_mul_f64_e32 v[116:117], v[90:91], v[30:31]
	v_mul_f64_e32 v[118:119], v[88:89], v[30:31]
	s_wait_loadcnt_dscnt 0x404
	v_mul_f64_e32 v[120:121], v[94:95], v[34:35]
	v_mul_f64_e32 v[122:123], v[92:93], v[34:35]
	;; [unrolled: 3-line block ×3, first 2 shown]
	v_mul_f64_e32 v[12:13], v[78:79], v[46:47]
	v_mul_f64_e32 v[14:15], v[76:77], v[46:47]
	s_wait_loadcnt_dscnt 0x202
	v_mul_f64_e32 v[128:129], v[102:103], v[154:155]
	v_mul_f64_e32 v[130:131], v[100:101], v[154:155]
	s_wait_loadcnt_dscnt 0x101
	;; [unrolled: 3-line block ×3, first 2 shown]
	v_mul_f64_e32 v[136:137], v[110:111], v[146:147]
	v_mul_f64_e32 v[138:139], v[108:109], v[146:147]
	s_clause 0xb
	scratch_store_b128 off, v[140:143], off offset:128
	scratch_store_b128 off, v[144:147], off offset:144
	;; [unrolled: 1-line block ×6, first 2 shown]
	scratch_store_b128 off, v[20:23], off
	scratch_store_b128 off, v[24:27], off offset:16
	scratch_store_b128 off, v[28:31], off offset:32
	scratch_store_b128 off, v[32:35], off offset:48
	scratch_store_b128 off, v[152:155], off offset:176
	scratch_store_b128 off, v[148:151], off offset:160
	v_fma_f64 v[4:5], v[68:69], v[48:49], -v[4:5]
	v_fma_f64 v[0:1], v[64:65], v[140:141], -v[0:1]
	;; [unrolled: 1-line block ×3, first 2 shown]
	v_fma_f64 v[2:3], v[66:67], v[140:141], v[2:3]
	v_fma_f64 v[6:7], v[70:71], v[48:49], v[6:7]
	;; [unrolled: 1-line block ×3, first 2 shown]
	v_fma_f64 v[16:17], v[80:81], v[40:41], -v[16:17]
	v_fma_f64 v[18:19], v[82:83], v[40:41], v[18:19]
	v_fma_f64 v[80:81], v[84:85], v[20:21], -v[112:113]
	v_fma_f64 v[82:83], v[86:87], v[20:21], v[114:115]
	;; [unrolled: 2-line block ×9, first 2 shown]
	ds_load_b128 v[64:67], v231
	ds_load_b128 v[68:71], v231 offset:1088
	ds_load_b128 v[72:75], v231 offset:2176
	;; [unrolled: 1-line block ×3, first 2 shown]
	global_wb scope:SCOPE_SE
	s_wait_storecnt_dscnt 0x0
	s_barrier_signal -1
	s_barrier_wait -1
	global_inv scope:SCOPE_SE
	v_add_f64_e64 v[8:9], v[0:1], -v[8:9]
	v_add_f64_e64 v[4:5], v[64:65], -v[4:5]
	;; [unrolled: 1-line block ×16, first 2 shown]
	v_fma_f64 v[0:1], v[0:1], 2.0, -v[8:9]
	v_fma_f64 v[103:104], v[64:65], 2.0, -v[4:5]
	;; [unrolled: 1-line block ×6, first 2 shown]
	v_add_f64_e64 v[64:65], v[4:5], -v[10:11]
	v_add_f64_e32 v[66:67], v[6:7], v[8:9]
	v_lshrrev_b32_e32 v8, 22, v62
	v_fma_f64 v[117:118], v[72:73], 2.0, -v[109:110]
	v_fma_f64 v[119:120], v[74:75], 2.0, -v[111:112]
	;; [unrolled: 1-line block ×6, first 2 shown]
	v_add_f64_e64 v[68:69], v[16:17], -v[82:83]
	v_add_f64_e32 v[70:71], v[18:19], v[80:81]
	v_fma_f64 v[125:126], v[76:77], 2.0, -v[121:122]
	v_fma_f64 v[127:128], v[78:79], 2.0, -v[123:124]
	;; [unrolled: 1-line block ×4, first 2 shown]
	v_add_f64_e64 v[76:77], v[109:110], -v[90:91]
	v_add_f64_e32 v[78:79], v[111:112], v[88:89]
	v_add_f64_e64 v[89:90], v[121:122], -v[92:93]
	v_add_f64_e32 v[91:92], v[123:124], v[100:101]
	v_add_f64_e64 v[72:73], v[103:104], -v[0:1]
	v_mad_co_u64_u32 v[0:1], null, v200, 48, s[4:5]
	v_add_f64_e64 v[74:75], v[107:108], -v[2:3]
	v_mul_lo_u16 v2, 0x79, v61
	v_and_b32_e32 v3, 0xffff, v63
	v_fma_f64 v[99:100], v[6:7], 2.0, -v[66:67]
	v_mul_lo_u16 v6, 0x44, v8
	s_delay_alu instid0(VALU_DEP_4) | instskip(NEXT) | instid1(VALU_DEP_4)
	v_lshrrev_b16 v2, 13, v2
	v_mul_u32_u24_e32 v3, 0x44, v3
	v_add_f64_e64 v[84:85], v[117:118], -v[84:85]
	v_add_f64_e64 v[86:87], v[119:120], -v[86:87]
	;; [unrolled: 1-line block ×4, first 2 shown]
	v_fma_f64 v[101:102], v[16:17], 2.0, -v[68:69]
	v_mul_lo_u16 v2, 0x44, v2
	v_sub_nc_u16 v20, v52, v6
	v_mad_u16 v6, 0x44, v54, v58
	v_add_f64_e64 v[93:94], v[125:126], -v[94:95]
	v_add_f64_e64 v[95:96], v[127:128], -v[96:97]
	v_fma_f64 v[97:98], v[4:5], 2.0, -v[64:65]
	v_fma_f64 v[109:110], v[109:110], 2.0, -v[76:77]
	;; [unrolled: 1-line block ×5, first 2 shown]
	v_and_b32_e32 v4, 0xffff, v59
	v_and_b32_e32 v5, 0xffff, v56
	v_sub_nc_u16 v2, v53, v2
	v_add_nc_u32_e32 v3, v3, v55
	s_delay_alu instid0(VALU_DEP_4) | instskip(NEXT) | instid1(VALU_DEP_4)
	v_mul_u32_u24_e32 v4, 0x44, v4
	v_mul_u32_u24_e32 v5, 0x44, v5
	s_delay_alu instid0(VALU_DEP_4) | instskip(NEXT) | instid1(VALU_DEP_4)
	v_and_b32_e32 v88, 0xff, v2
	v_add_lshl_u32 v7, v233, v3, 4
	s_delay_alu instid0(VALU_DEP_4) | instskip(NEXT) | instid1(VALU_DEP_4)
	v_add_nc_u32_e32 v2, v4, v57
	v_add_nc_u32_e32 v4, v5, v60
	v_fma_f64 v[105:106], v[103:104], 2.0, -v[72:73]
	v_fma_f64 v[103:104], v[18:19], 2.0, -v[70:71]
	v_and_b32_e32 v5, 0xffff, v6
	v_fma_f64 v[107:108], v[107:108], 2.0, -v[74:75]
	v_mul_lo_u16 v6, v20, 48
	v_add_lshl_u32 v3, v233, v2, 4
	v_add_lshl_u32 v2, v233, v4, 4
	;; [unrolled: 1-line block ×3, first 2 shown]
	ds_store_b128 v7, v[72:75] offset:544
	ds_store_b128 v7, v[64:67] offset:816
	ds_store_b128 v7, v[105:108]
	v_fma_f64 v[117:118], v[117:118], 2.0, -v[84:85]
	v_fma_f64 v[119:120], v[119:120], 2.0, -v[86:87]
	;; [unrolled: 1-line block ×6, first 2 shown]
	scratch_store_b32 off, v7, off offset:472 ; 4-byte Folded Spill
	ds_store_b128 v7, v[97:100] offset:272
	ds_store_b128 v3, v[80:83] offset:544
	;; [unrolled: 1-line block ×3, first 2 shown]
	ds_store_b128 v3, v[113:116]
	scratch_store_b32 off, v3, off offset:468 ; 4-byte Folded Spill
	ds_store_b128 v3, v[101:104] offset:272
	ds_store_b128 v2, v[117:120]
	ds_store_b128 v2, v[109:112] offset:272
	ds_store_b128 v2, v[84:87] offset:544
	scratch_store_b32 off, v2, off offset:432 ; 4-byte Folded Spill
	ds_store_b128 v2, v[76:79] offset:816
	ds_store_b128 v253, v[93:96] offset:544
	;; [unrolled: 1-line block ×3, first 2 shown]
	ds_store_b128 v253, v[125:128]
	ds_store_b128 v253, v[121:124] offset:272
	global_wb scope:SCOPE_SE
	s_wait_storecnt_dscnt 0x0
	s_barrier_signal -1
	s_barrier_wait -1
	global_inv scope:SCOPE_SE
	s_clause 0x2
	global_load_b128 v[37:40], v[0:1], off offset:816
	global_load_b128 v[33:36], v[0:1], off offset:832
	;; [unrolled: 1-line block ×3, first 2 shown]
	v_and_b32_e32 v0, 0xffff, v6
	v_mad_co_u64_u32 v[2:3], null, v88, 48, s[4:5]
	s_delay_alu instid0(VALU_DEP_2)
	v_add_co_u32 v0, s6, s4, v0
	s_wait_alu 0xf1ff
	v_add_co_ci_u32_e64 v1, null, s5, 0, s6
	s_clause 0x5
	global_load_b128 v[29:32], v[2:3], off offset:816
	global_load_b128 v[41:44], v[2:3], off offset:832
	;; [unrolled: 1-line block ×6, first 2 shown]
	ds_load_b128 v[89:92], v231 offset:4352
	ds_load_b128 v[93:96], v231 offset:8704
	;; [unrolled: 1-line block ×12, first 2 shown]
	s_wait_loadcnt_dscnt 0x707
	v_mul_f64_e32 v[16:17], v[107:108], v[35:36]
	v_mul_f64_e32 v[18:19], v[105:106], v[35:36]
	s_wait_loadcnt_dscnt 0x606
	v_mul_f64_e32 v[137:138], v[111:112], v[23:24]
	v_mul_f64_e32 v[139:140], v[109:110], v[23:24]
	;; [unrolled: 1-line block ×6, first 2 shown]
	s_wait_loadcnt_dscnt 0x404
	v_mul_f64_e32 v[145:146], v[119:120], v[43:44]
	v_mul_f64_e32 v[147:148], v[117:118], v[43:44]
	s_wait_loadcnt_dscnt 0x303
	v_mul_f64_e32 v[149:150], v[123:124], v[27:28]
	v_mul_f64_e32 v[141:142], v[115:116], v[31:32]
	;; [unrolled: 1-line block ×4, first 2 shown]
	s_wait_loadcnt_dscnt 0x202
	v_mul_f64_e32 v[153:154], v[127:128], v[55:56]
	v_mul_f64_e32 v[155:156], v[125:126], v[55:56]
	s_wait_loadcnt_dscnt 0x101
	v_mul_f64_e32 v[157:158], v[131:132], v[51:52]
	v_mul_f64_e32 v[159:160], v[129:130], v[51:52]
	;; [unrolled: 3-line block ×3, first 2 shown]
	v_mul_f64_e32 v[6:7], v[93:94], v[35:36]
	v_mul_f64_e32 v[10:11], v[97:98], v[23:24]
	;; [unrolled: 1-line block ×4, first 2 shown]
	s_clause 0x8
	scratch_store_b128 off, v[37:40], off offset:256
	scratch_store_b128 off, v[41:44], off offset:272
	;; [unrolled: 1-line block ×9, first 2 shown]
	v_fma_f64 v[16:17], v[105:106], v[33:34], -v[16:17]
	v_fma_f64 v[18:19], v[107:108], v[33:34], v[18:19]
	v_fma_f64 v[105:106], v[109:110], v[21:22], -v[137:138]
	v_fma_f64 v[107:108], v[111:112], v[21:22], v[139:140]
	v_fma_f64 v[0:1], v[89:90], v[37:38], -v[0:1]
	v_fma_f64 v[4:5], v[93:94], v[33:34], -v[4:5]
	v_fma_f64 v[8:9], v[97:98], v[21:22], -v[8:9]
	v_fma_f64 v[2:3], v[91:92], v[37:38], v[2:3]
	v_fma_f64 v[109:110], v[113:114], v[29:30], -v[141:142]
	v_fma_f64 v[111:112], v[115:116], v[29:30], v[143:144]
	v_fma_f64 v[113:114], v[117:118], v[41:42], -v[145:146]
	;; [unrolled: 2-line block ×6, first 2 shown]
	v_fma_f64 v[131:132], v[135:136], v[45:46], v[163:164]
	v_fma_f64 v[6:7], v[95:96], v[33:34], v[6:7]
	;; [unrolled: 1-line block ×3, first 2 shown]
	v_fma_f64 v[12:13], v[101:102], v[37:38], -v[12:13]
	v_fma_f64 v[14:15], v[103:104], v[37:38], v[14:15]
	ds_load_b128 v[89:92], v231
	ds_load_b128 v[93:96], v231 offset:1088
	ds_load_b128 v[97:100], v231 offset:2176
	;; [unrolled: 1-line block ×3, first 2 shown]
	global_wb scope:SCOPE_SE
	s_wait_storecnt_dscnt 0x0
	s_barrier_signal -1
	s_barrier_wait -1
	global_inv scope:SCOPE_SE
	v_add_f64_e64 v[4:5], v[89:90], -v[4:5]
	v_add_f64_e64 v[8:9], v[0:1], -v[8:9]
	;; [unrolled: 1-line block ×16, first 2 shown]
	v_fma_f64 v[131:132], v[89:90], 2.0, -v[4:5]
	v_fma_f64 v[0:1], v[0:1], 2.0, -v[8:9]
	;; [unrolled: 1-line block ×8, first 2 shown]
	v_add_f64_e64 v[97:98], v[133:134], -v[115:116]
	v_fma_f64 v[149:150], v[101:102], 2.0, -v[147:148]
	v_fma_f64 v[151:152], v[103:104], 2.0, -v[153:154]
	;; [unrolled: 1-line block ×8, first 2 shown]
	v_add_f64_e32 v[115:116], v[153:154], v[125:126]
	v_add_f64_e64 v[89:90], v[4:5], -v[10:11]
	v_add_f64_e32 v[91:92], v[6:7], v[8:9]
	v_add_f64_e64 v[93:94], v[16:17], -v[107:108]
	;; [unrolled: 2-line block ×3, first 2 shown]
	v_and_b32_e32 v0, 0xffff, v20
	v_add_lshl_u32 v1, v233, v88, 4
	s_delay_alu instid0(VALU_DEP_2)
	v_add_lshl_u32 v0, v233, v0, 4
	v_add_f64_e64 v[109:110], v[141:142], -v[99:100]
	v_add_f64_e32 v[99:100], v[145:146], v[113:114]
	v_add_f64_e64 v[113:114], v[147:148], -v[117:118]
	v_add_f64_e64 v[111:112], v[143:144], -v[111:112]
	v_fma_f64 v[129:130], v[133:134], 2.0, -v[97:98]
	v_add_f64_e64 v[117:118], v[149:150], -v[119:120]
	v_add_f64_e64 v[119:120], v[151:152], -v[121:122]
	;; [unrolled: 1-line block ×5, first 2 shown]
	v_fma_f64 v[121:122], v[4:5], 2.0, -v[89:90]
	v_fma_f64 v[123:124], v[6:7], 2.0, -v[91:92]
	;; [unrolled: 1-line block ×15, first 2 shown]
	ds_store_b128 v231, v[101:104] offset:2176
	ds_store_b128 v231, v[89:92] offset:3264
	;; [unrolled: 1-line block ×4, first 2 shown]
	ds_store_b128 v231, v[133:136]
	ds_store_b128 v231, v[121:124] offset:1088
	ds_store_b128 v231, v[137:140] offset:4352
	;; [unrolled: 1-line block ×6, first 2 shown]
	scratch_store_b32 off, v1, off offset:480 ; 4-byte Folded Spill
	ds_store_b128 v1, v[97:100] offset:11968
	ds_store_b128 v0, v[149:152] offset:13056
	;; [unrolled: 1-line block ×4, first 2 shown]
	scratch_store_b32 off, v0, off offset:476 ; 4-byte Folded Spill
	ds_store_b128 v0, v[113:116] offset:16320
	global_wb scope:SCOPE_SE
	s_wait_storecnt_dscnt 0x0
	s_barrier_signal -1
	s_barrier_wait -1
	global_inv scope:SCOPE_SE
	s_clause 0x3
	global_load_b128 v[88:91], v240, s[4:5] offset:4080
	global_load_b128 v[92:95], v240, s[4:5] offset:5168
	;; [unrolled: 1-line block ×4, first 2 shown]
	ds_load_b128 v[104:107], v231 offset:8704
	ds_load_b128 v[108:111], v231 offset:9792
	;; [unrolled: 1-line block ×8, first 2 shown]
	s_wait_loadcnt_dscnt 0x307
	v_mul_f64_e32 v[0:1], v[106:107], v[90:91]
	v_mul_f64_e32 v[2:3], v[104:105], v[90:91]
	s_wait_loadcnt_dscnt 0x206
	v_mul_f64_e32 v[4:5], v[110:111], v[94:95]
	v_mul_f64_e32 v[6:7], v[108:109], v[94:95]
	;; [unrolled: 3-line block ×4, first 2 shown]
	s_wait_dscnt 0x3
	v_mul_f64_e32 v[16:17], v[122:123], v[90:91]
	v_mul_f64_e32 v[18:19], v[120:121], v[90:91]
	s_wait_dscnt 0x2
	v_mul_f64_e32 v[136:137], v[126:127], v[94:95]
	v_mul_f64_e32 v[138:139], v[124:125], v[94:95]
	s_wait_dscnt 0x1
	v_mul_f64_e32 v[140:141], v[130:131], v[98:99]
	v_mul_f64_e32 v[142:143], v[128:129], v[98:99]
	s_wait_dscnt 0x0
	v_mul_f64_e32 v[144:145], v[134:135], v[102:103]
	v_mul_f64_e32 v[146:147], v[132:133], v[102:103]
	v_fma_f64 v[0:1], v[104:105], v[88:89], -v[0:1]
	v_fma_f64 v[2:3], v[106:107], v[88:89], v[2:3]
	v_fma_f64 v[4:5], v[108:109], v[92:93], -v[4:5]
	v_fma_f64 v[6:7], v[110:111], v[92:93], v[6:7]
	;; [unrolled: 2-line block ×8, first 2 shown]
	ds_load_b128 v[104:107], v231
	ds_load_b128 v[108:111], v231 offset:1088
	ds_load_b128 v[112:115], v231 offset:2176
	;; [unrolled: 1-line block ×7, first 2 shown]
	global_wb scope:SCOPE_SE
	s_wait_dscnt 0x0
	s_barrier_signal -1
	s_barrier_wait -1
	global_inv scope:SCOPE_SE
	v_add_f64_e64 v[136:137], v[104:105], -v[0:1]
	v_add_f64_e64 v[138:139], v[106:107], -v[2:3]
	;; [unrolled: 1-line block ×16, first 2 shown]
	v_fma_f64 v[104:105], v[104:105], 2.0, -v[136:137]
	v_fma_f64 v[106:107], v[106:107], 2.0, -v[138:139]
	;; [unrolled: 1-line block ×16, first 2 shown]
	ds_store_b128 v231, v[136:139] offset:4352
	ds_store_b128 v231, v[140:143] offset:5440
	;; [unrolled: 1-line block ×8, first 2 shown]
	ds_store_b128 v231, v[104:107]
	ds_store_b128 v231, v[108:111] offset:1088
	ds_store_b128 v231, v[112:115] offset:2176
	;; [unrolled: 1-line block ×7, first 2 shown]
	global_wb scope:SCOPE_SE
	s_wait_dscnt 0x0
	s_barrier_signal -1
	s_barrier_wait -1
	global_inv scope:SCOPE_SE
	s_clause 0x7
	global_load_b128 v[20:23], v240, s[4:5] offset:8432
	global_load_b128 v[24:27], v240, s[4:5] offset:9520
	;; [unrolled: 1-line block ×8, first 2 shown]
	ds_load_b128 v[136:139], v231 offset:8704
	ds_load_b128 v[140:143], v231 offset:9792
	;; [unrolled: 1-line block ×8, first 2 shown]
	s_wait_loadcnt_dscnt 0x707
	v_mul_f64_e32 v[0:1], v[138:139], v[22:23]
	v_mul_f64_e32 v[2:3], v[136:137], v[22:23]
	s_wait_loadcnt_dscnt 0x606
	v_mul_f64_e32 v[4:5], v[142:143], v[26:27]
	v_mul_f64_e32 v[6:7], v[140:141], v[26:27]
	;; [unrolled: 3-line block ×8, first 2 shown]
	s_clause 0x7
	scratch_store_b128 off, v[20:23], off offset:336
	scratch_store_b128 off, v[24:27], off offset:352
	;; [unrolled: 1-line block ×8, first 2 shown]
	v_fma_f64 v[0:1], v[136:137], v[20:21], -v[0:1]
	v_fma_f64 v[2:3], v[138:139], v[20:21], v[2:3]
	v_fma_f64 v[4:5], v[140:141], v[24:25], -v[4:5]
	v_fma_f64 v[6:7], v[142:143], v[24:25], v[6:7]
	v_fma_f64 v[8:9], v[144:145], v[28:29], -v[8:9]
	v_fma_f64 v[10:11], v[146:147], v[28:29], v[10:11]
	v_fma_f64 v[12:13], v[148:149], v[32:33], -v[12:13]
	v_fma_f64 v[14:15], v[150:151], v[32:33], v[14:15]
	v_fma_f64 v[16:17], v[152:153], v[36:37], -v[16:17]
	v_fma_f64 v[18:19], v[154:155], v[36:37], v[18:19]
	v_fma_f64 v[156:157], v[156:157], v[40:41], -v[168:169]
	v_fma_f64 v[158:159], v[158:159], v[40:41], v[170:171]
	v_fma_f64 v[184:185], v[160:161], v[44:45], -v[172:173]
	v_fma_f64 v[186:187], v[162:163], v[44:45], v[174:175]
	v_fma_f64 v[196:197], v[164:165], v[48:49], -v[176:177]
	v_fma_f64 v[198:199], v[166:167], v[48:49], v[178:179]
	ds_load_b128 v[136:139], v231
	ds_load_b128 v[148:151], v231 offset:1088
	ds_load_b128 v[160:163], v231 offset:2176
	;; [unrolled: 1-line block ×7, first 2 shown]
	s_wait_dscnt 0x7
	v_add_f64_e64 v[140:141], v[136:137], -v[0:1]
	v_add_f64_e64 v[142:143], v[138:139], -v[2:3]
	s_wait_dscnt 0x6
	v_add_f64_e64 v[144:145], v[148:149], -v[4:5]
	v_add_f64_e64 v[146:147], v[150:151], -v[6:7]
	;; [unrolled: 3-line block ×8, first 2 shown]
	v_fma_f64 v[136:137], v[136:137], 2.0, -v[140:141]
	v_fma_f64 v[138:139], v[138:139], 2.0, -v[142:143]
	v_fma_f64 v[148:149], v[148:149], 2.0, -v[144:145]
	v_fma_f64 v[150:151], v[150:151], 2.0, -v[146:147]
	v_fma_f64 v[160:161], v[160:161], 2.0, -v[152:153]
	v_fma_f64 v[162:163], v[162:163], 2.0, -v[154:155]
	v_fma_f64 v[184:185], v[168:169], 2.0, -v[180:181]
	v_fma_f64 v[186:187], v[170:171], 2.0, -v[182:183]
	v_fma_f64 v[196:197], v[176:177], 2.0, -v[188:189]
	v_fma_f64 v[198:199], v[178:179], 2.0, -v[190:191]
	v_fma_f64 v[192:193], v[192:193], 2.0, -v[172:173]
	v_fma_f64 v[194:195], v[194:195], 2.0, -v[174:175]
	v_fma_f64 v[176:177], v[201:202], 2.0, -v[164:165]
	v_fma_f64 v[178:179], v[203:204], 2.0, -v[166:167]
	v_fma_f64 v[168:169], v[205:206], 2.0, -v[156:157]
	v_fma_f64 v[170:171], v[207:208], 2.0, -v[158:159]
	v_add_nc_u32_e32 v201, v240, v252
	ds_store_b128 v234, v[144:147] offset:9792
	ds_store_b128 v234, v[152:155] offset:10880
	;; [unrolled: 1-line block ×5, first 2 shown]
	ds_store_b128 v234, v[136:139]
	ds_store_b128 v234, v[148:151] offset:1088
	ds_store_b128 v234, v[160:163] offset:2176
	;; [unrolled: 1-line block ×10, first 2 shown]
	global_wb scope:SCOPE_SE
	s_wait_storecnt_dscnt 0x0
	s_barrier_signal -1
	s_barrier_wait -1
	global_inv scope:SCOPE_SE
	s_and_saveexec_b32 s6, vcc_lo
	s_cbranch_execz .LBB0_9
; %bb.8:
	global_load_b128 v[202:205], v214, s[8:9] offset:17408
	s_add_nc_u64 s[4:5], s[8:9], 0x4400
	v_dual_mov_b32 v29, v240 :: v_dual_mov_b32 v22, v213
	s_clause 0x1
	global_load_b128 v[206:209], v214, s[4:5] offset:1024
	global_load_b128 v[240:243], v214, s[4:5] offset:2048
	v_dual_mov_b32 v25, v245 :: v_dual_mov_b32 v26, v246
	v_dual_mov_b32 v27, v247 :: v_dual_mov_b32 v28, v248
	s_clause 0x1
	global_load_b128 v[244:247], v214, s[4:5] offset:3072
	global_load_b128 v[248:251], v214, s[4:5] offset:4096
	v_dual_mov_b32 v24, v252 :: v_dual_mov_b32 v23, v233
	v_mov_b32_e32 v30, v253
	s_clause 0x2
	global_load_b128 v[252:255], v214, s[4:5] offset:5120
	global_load_b128 v[215:218], v214, s[4:5] offset:6144
	;; [unrolled: 1-line block ×3, first 2 shown]
	ds_load_b128 v[223:226], v239
	s_clause 0x1
	global_load_b128 v[227:230], v214, s[4:5] offset:8192
	global_load_b128 v[235:238], v214, s[4:5] offset:9216
	s_wait_loadcnt_dscnt 0x900
	v_mul_f64_e32 v[0:1], v[225:226], v[204:205]
	v_mul_f64_e32 v[2:3], v[223:224], v[204:205]
	s_delay_alu instid0(VALU_DEP_2) | instskip(NEXT) | instid1(VALU_DEP_2)
	v_fma_f64 v[223:224], v[223:224], v[202:203], -v[0:1]
	v_fma_f64 v[225:226], v[225:226], v[202:203], v[2:3]
	s_clause 0x1
	global_load_b128 v[202:205], v214, s[4:5] offset:10240
	global_load_b128 v[0:3], v214, s[4:5] offset:11264
	ds_store_b128 v239, v[223:226]
	ds_load_b128 v[223:226], v234 offset:1024
	ds_load_b128 v[210:213], v234 offset:2048
	s_wait_loadcnt_dscnt 0xa01
	v_mul_f64_e32 v[4:5], v[225:226], v[208:209]
	v_mul_f64_e32 v[6:7], v[223:224], v[208:209]
	s_wait_loadcnt_dscnt 0x900
	v_mul_f64_e32 v[8:9], v[212:213], v[242:243]
	v_mul_f64_e32 v[10:11], v[210:211], v[242:243]
	s_delay_alu instid0(VALU_DEP_4) | instskip(NEXT) | instid1(VALU_DEP_4)
	v_fma_f64 v[223:224], v[223:224], v[206:207], -v[4:5]
	v_fma_f64 v[225:226], v[225:226], v[206:207], v[6:7]
	ds_load_b128 v[206:209], v234 offset:3072
	ds_load_b128 v[4:7], v234 offset:4096
	v_fma_f64 v[210:211], v[210:211], v[240:241], -v[8:9]
	v_fma_f64 v[212:213], v[212:213], v[240:241], v[10:11]
	s_wait_loadcnt_dscnt 0x801
	v_mul_f64_e32 v[12:13], v[208:209], v[246:247]
	v_mul_f64_e32 v[8:9], v[206:207], v[246:247]
	s_wait_loadcnt_dscnt 0x700
	v_mul_f64_e32 v[10:11], v[6:7], v[250:251]
	v_mul_f64_e32 v[14:15], v[4:5], v[250:251]
	s_delay_alu instid0(VALU_DEP_4) | instskip(NEXT) | instid1(VALU_DEP_4)
	v_fma_f64 v[206:207], v[206:207], v[244:245], -v[12:13]
	v_fma_f64 v[208:209], v[208:209], v[244:245], v[8:9]
	ds_load_b128 v[240:243], v234 offset:5120
	ds_load_b128 v[244:247], v234 offset:6144
	v_fma_f64 v[4:5], v[4:5], v[248:249], -v[10:11]
	v_fma_f64 v[6:7], v[6:7], v[248:249], v[14:15]
	;; [unrolled: 13-line block ×4, first 2 shown]
	global_load_b128 v[227:230], v214, s[4:5] offset:12288
	s_wait_loadcnt_dscnt 0x301
	v_mul_f64_e32 v[8:9], v[221:222], v[237:238]
	v_mul_f64_e32 v[10:11], v[219:220], v[237:238]
	s_wait_loadcnt_dscnt 0x200
	v_mul_f64_e32 v[12:13], v[250:251], v[204:205]
	v_mul_f64_e32 v[14:15], v[248:249], v[204:205]
	s_delay_alu instid0(VALU_DEP_4) | instskip(NEXT) | instid1(VALU_DEP_4)
	v_fma_f64 v[219:220], v[219:220], v[235:236], -v[8:9]
	v_fma_f64 v[221:222], v[221:222], v[235:236], v[10:11]
	ds_load_b128 v[235:238], v234 offset:11264
	v_fma_f64 v[248:249], v[248:249], v[202:203], -v[12:13]
	v_fma_f64 v[250:251], v[250:251], v[202:203], v[14:15]
	ds_load_b128 v[202:205], v234 offset:12288
	s_wait_loadcnt_dscnt 0x101
	v_mul_f64_e32 v[8:9], v[237:238], v[2:3]
	v_mul_f64_e32 v[2:3], v[235:236], v[2:3]
	s_delay_alu instid0(VALU_DEP_2) | instskip(NEXT) | instid1(VALU_DEP_2)
	v_fma_f64 v[235:236], v[235:236], v[0:1], -v[8:9]
	v_fma_f64 v[237:238], v[237:238], v[0:1], v[2:3]
	global_load_b128 v[0:3], v214, s[4:5] offset:13312
	s_wait_loadcnt_dscnt 0x100
	v_mul_f64_e32 v[8:9], v[204:205], v[229:230]
	v_mul_f64_e32 v[10:11], v[202:203], v[229:230]
	s_delay_alu instid0(VALU_DEP_2) | instskip(NEXT) | instid1(VALU_DEP_2)
	v_fma_f64 v[202:203], v[202:203], v[227:228], -v[8:9]
	v_fma_f64 v[204:205], v[204:205], v[227:228], v[10:11]
	ds_load_b128 v[227:230], v234 offset:13312
	ds_load_b128 v[8:11], v234 offset:14336
	s_wait_loadcnt_dscnt 0x1
	v_mul_f64_e32 v[12:13], v[229:230], v[2:3]
	v_mul_f64_e32 v[2:3], v[227:228], v[2:3]
	s_delay_alu instid0(VALU_DEP_2) | instskip(NEXT) | instid1(VALU_DEP_2)
	v_fma_f64 v[227:228], v[227:228], v[0:1], -v[12:13]
	v_fma_f64 v[229:230], v[229:230], v[0:1], v[2:3]
	s_clause 0x1
	global_load_b128 v[0:3], v214, s[4:5] offset:14336
	global_load_b128 v[12:15], v214, s[4:5] offset:15360
	s_wait_loadcnt_dscnt 0x100
	v_mul_f64_e32 v[16:17], v[10:11], v[2:3]
	v_mul_f64_e32 v[2:3], v[8:9], v[2:3]
	s_delay_alu instid0(VALU_DEP_2) | instskip(NEXT) | instid1(VALU_DEP_2)
	v_fma_f64 v[8:9], v[8:9], v[0:1], -v[16:17]
	v_fma_f64 v[10:11], v[10:11], v[0:1], v[2:3]
	ds_load_b128 v[0:3], v234 offset:15360
	ds_load_b128 v[16:19], v234 offset:16384
	s_wait_loadcnt_dscnt 0x1
	v_mul_f64_e32 v[232:233], v[2:3], v[14:15]
	v_mul_f64_e32 v[14:15], v[0:1], v[14:15]
	s_delay_alu instid0(VALU_DEP_2) | instskip(NEXT) | instid1(VALU_DEP_2)
	v_fma_f64 v[0:1], v[0:1], v[12:13], -v[232:233]
	v_fma_f64 v[2:3], v[2:3], v[12:13], v[14:15]
	global_load_b128 v[12:15], v214, s[4:5] offset:16384
	ds_store_b128 v234, v[223:226] offset:1024
	ds_store_b128 v234, v[210:213] offset:2048
	;; [unrolled: 1-line block ×10, first 2 shown]
	v_dual_mov_b32 v248, v28 :: v_dual_mov_b32 v247, v27
	v_dual_mov_b32 v240, v29 :: v_dual_mov_b32 v213, v22
	;; [unrolled: 1-line block ×3, first 2 shown]
	v_mov_b32_e32 v252, v24
	s_wait_loadcnt_dscnt 0xa
	v_mul_f64_e32 v[232:233], v[18:19], v[14:15]
	v_mul_f64_e32 v[20:21], v[16:17], v[14:15]
	s_delay_alu instid0(VALU_DEP_2) | instskip(NEXT) | instid1(VALU_DEP_2)
	v_fma_f64 v[14:15], v[16:17], v[12:13], -v[232:233]
	v_fma_f64 v[16:17], v[18:19], v[12:13], v[20:21]
	v_mov_b32_e32 v233, v23
	v_mov_b32_e32 v253, v30
	ds_store_b128 v234, v[235:238] offset:11264
	ds_store_b128 v234, v[202:205] offset:12288
	;; [unrolled: 1-line block ×6, first 2 shown]
.LBB0_9:
	s_wait_alu 0xfffe
	s_or_b32 exec_lo, exec_lo, s6
	global_wb scope:SCOPE_SE
	s_wait_dscnt 0x0
	s_barrier_signal -1
	s_barrier_wait -1
	global_inv scope:SCOPE_SE
	s_and_saveexec_b32 s4, vcc_lo
	s_cbranch_execz .LBB0_11
; %bb.10:
	ds_load_b128 v[136:139], v239
	ds_load_b128 v[140:143], v234 offset:1024
	ds_load_b128 v[148:151], v234 offset:2048
	;; [unrolled: 1-line block ×16, first 2 shown]
.LBB0_11:
	s_wait_alu 0xfffe
	s_or_b32 exec_lo, exec_lo, s4
	v_add_nc_u32_e32 v202, 0x1980, v201
	v_add_nc_u32_e32 v201, 0x1dc0, v201
	global_wb scope:SCOPE_SE
	s_wait_dscnt 0x0
	s_barrier_signal -1
	s_barrier_wait -1
	global_inv scope:SCOPE_SE
	s_and_saveexec_b32 s33, vcc_lo
	s_cbranch_execz .LBB0_13
; %bb.12:
	v_add_f64_e32 v[0:1], v[138:139], v[142:143]
	v_add_f64_e32 v[2:3], v[136:137], v[140:141]
	v_add_f64_e64 v[6:7], v[140:141], -v[245:246]
	s_mov_b32 s24, 0x6c9a05f6
	s_mov_b32 s25, 0xbfe9895b
	v_add_f64_e64 v[8:9], v[142:143], -v[247:248]
	v_add_f64_e32 v[10:11], v[247:248], v[142:143]
	s_mov_b32 s10, 0x6ed5f1bb
	s_mov_b32 s11, 0xbfe348c8
	v_add_f64_e64 v[203:204], v[196:197], -v[188:189]
	s_clause 0x1
	scratch_store_b32 off, v201, off offset:496
	scratch_store_b32 off, v202, off offset:500
	v_add_f64_e32 v[201:202], v[198:199], v[190:191]
	v_add_f64_e64 v[205:206], v[180:181], -v[192:193]
	v_add_f64_e64 v[207:208], v[182:183], -v[194:195]
	v_add_f64_e32 v[12:13], v[245:246], v[140:141]
	s_mov_b32 s46, 0x923c349f
	s_mov_b32 s47, 0xbfeec746
	;; [unrolled: 1-line block ×7, first 2 shown]
	s_wait_alu 0xfffe
	s_mov_b32 s42, s26
	s_mov_b32 s16, 0x3259b75e
	;; [unrolled: 1-line block ×6, first 2 shown]
	s_wait_alu 0xfffe
	s_mov_b32 s36, s44
	s_mov_b32 s18, 0x2b2883cd
	;; [unrolled: 1-line block ×6, first 2 shown]
	s_wait_alu 0xfffe
	s_mov_b32 s48, s34
	s_mov_b32 s20, 0x75d4884
	;; [unrolled: 1-line block ×4, first 2 shown]
	v_add_f64_e32 v[0:1], v[150:151], v[0:1]
	v_add_f64_e32 v[2:3], v[148:149], v[2:3]
	v_mul_f64_e32 v[16:17], s[24:25], v[6:7]
	v_mul_f64_e32 v[18:19], s[46:47], v[6:7]
	;; [unrolled: 1-line block ×8, first 2 shown]
	s_wait_alu 0xfffe
	v_mul_f64_e32 v[140:141], s[48:49], v[6:7]
	v_mul_f64_e32 v[227:228], s[48:49], v[8:9]
	s_mov_b32 s38, 0x4363dd80
	s_mov_b32 s40, 0x5d8e7cdc
	;; [unrolled: 1-line block ×6, first 2 shown]
	s_wait_alu 0xfffe
	s_mov_b32 s28, s40
	v_mul_f64_e32 v[14:15], s[38:39], v[6:7]
	s_mov_b32 s6, 0x910ea3b9
	s_mov_b32 s4, 0x7faef3
	;; [unrolled: 1-line block ×6, first 2 shown]
	v_mul_f64_e32 v[217:218], s[38:39], v[8:9]
	s_clause 0x1
	scratch_store_b32 off, v200, off offset:492
	scratch_store_b64 off, v[213:214], off offset:484
	v_mov_b32_e32 v200, v233
	v_mul_f64_e32 v[28:29], s[46:47], v[205:206]
	v_mul_f64_e32 v[32:33], s[26:27], v[203:204]
	s_mov_b32 s51, 0x3fe9895b
	s_mov_b32 s50, s24
	;; [unrolled: 1-line block ×4, first 2 shown]
	v_mul_f64_e32 v[36:37], s[44:45], v[203:204]
	v_mul_f64_e32 v[42:43], s[38:39], v[205:206]
	v_add_f64_e32 v[0:1], v[146:147], v[0:1]
	v_add_f64_e32 v[2:3], v[144:145], v[2:3]
	v_mul_f64_e32 v[62:63], s[38:39], v[207:208]
	v_mul_f64_e32 v[40:41], s[30:31], v[203:204]
	;; [unrolled: 1-line block ×3, first 2 shown]
	v_fma_f64 v[235:236], v[12:13], s[10:11], -v[219:220]
	v_fma_f64 v[219:220], v[12:13], s[10:11], v[219:220]
	v_fma_f64 v[237:238], v[12:13], s[14:15], -v[221:222]
	v_fma_f64 v[242:243], v[12:13], s[16:17], -v[223:224]
	;; [unrolled: 1-line block ×3, first 2 shown]
	v_fma_f64 v[22:23], v[10:11], s[18:19], v[22:23]
	v_fma_f64 v[211:212], v[10:11], s[20:21], -v[140:141]
	v_fma_f64 v[140:141], v[10:11], s[20:21], v[140:141]
	v_fma_f64 v[221:222], v[12:13], s[14:15], v[221:222]
	;; [unrolled: 1-line block ×3, first 2 shown]
	v_mul_f64_e32 v[116:117], s[40:41], v[203:204]
	v_mul_f64_e32 v[54:55], s[42:43], v[205:206]
	;; [unrolled: 1-line block ×3, first 2 shown]
	s_wait_alu 0xfffe
	v_mul_f64_e32 v[80:81], s[50:51], v[205:206]
	v_mul_f64_e32 v[82:83], s[34:35], v[203:204]
	v_mul_f64_e32 v[254:255], s[50:51], v[207:208]
	v_fma_f64 v[232:233], v[12:13], s[6:7], -v[217:218]
	v_fma_f64 v[217:218], v[12:13], s[6:7], v[217:218]
	v_fma_f64 v[34:35], v[201:202], s[16:17], v[32:33]
	v_add_f64_e32 v[0:1], v[162:163], v[0:1]
	v_add_f64_e32 v[2:3], v[160:161], v[2:3]
	;; [unrolled: 1-line block ×6, first 2 shown]
	v_fma_f64 v[84:85], v[201:202], s[20:21], -v[82:83]
	v_add_f64_e32 v[217:218], v[136:137], v[217:218]
	v_add_f64_e32 v[0:1], v[154:155], v[0:1]
	v_add_f64_e32 v[2:3], v[152:153], v[2:3]
	s_delay_alu instid0(VALU_DEP_2) | instskip(NEXT) | instid1(VALU_DEP_2)
	v_add_f64_e32 v[0:1], v[186:187], v[0:1]
	v_add_f64_e32 v[2:3], v[184:185], v[2:3]
	s_delay_alu instid0(VALU_DEP_2) | instskip(NEXT) | instid1(VALU_DEP_2)
	v_add_f64_e32 v[0:1], v[182:183], v[0:1]
	v_add_f64_e32 v[2:3], v[180:181], v[2:3]
	;; [unrolled: 1-line block ×3, first 2 shown]
	s_delay_alu instid0(VALU_DEP_3) | instskip(NEXT) | instid1(VALU_DEP_3)
	v_add_f64_e32 v[0:1], v[198:199], v[0:1]
	v_add_f64_e32 v[2:3], v[196:197], v[2:3]
	;; [unrolled: 1-line block ×3, first 2 shown]
	v_add_f64_e64 v[198:199], v[198:199], -v[190:191]
	s_delay_alu instid0(VALU_DEP_4) | instskip(NEXT) | instid1(VALU_DEP_4)
	v_add_f64_e32 v[0:1], v[190:191], v[0:1]
	v_add_f64_e32 v[2:3], v[188:189], v[2:3]
	;; [unrolled: 1-line block ×5, first 2 shown]
	v_mul_f64_e32 v[38:39], s[44:45], v[198:199]
	v_mul_f64_e32 v[118:119], s[40:41], v[198:199]
	v_add_f64_e32 v[0:1], v[194:195], v[0:1]
	v_add_f64_e32 v[2:3], v[192:193], v[2:3]
	v_add_f64_e64 v[192:193], v[184:185], -v[172:173]
	v_add_f64_e64 v[184:185], v[186:187], -v[174:175]
	v_add_f64_e64 v[194:195], v[154:155], -v[178:179]
	v_add_f64_e64 v[186:187], v[152:153], -v[176:177]
	v_add_f64_e32 v[152:153], v[176:177], v[152:153]
	v_fma_f64 v[30:31], v[188:189], s[14:15], v[28:29]
	v_fma_f64 v[114:115], v[188:189], s[18:19], -v[112:113]
	v_add_f64_e32 v[0:1], v[174:175], v[0:1]
	v_add_f64_e32 v[2:3], v[172:173], v[2:3]
	;; [unrolled: 1-line block ×5, first 2 shown]
	v_mul_f64_e32 v[24:25], s[44:45], v[192:193]
	v_mul_f64_e32 v[46:47], s[24:25], v[192:193]
	;; [unrolled: 1-line block ×9, first 2 shown]
	v_add_f64_e32 v[0:1], v[178:179], v[0:1]
	v_add_f64_e32 v[2:3], v[176:177], v[2:3]
	v_add_f64_e64 v[178:179], v[162:163], -v[166:167]
	v_add_f64_e32 v[162:163], v[146:147], v[170:171]
	v_add_f64_e64 v[176:177], v[160:161], -v[164:165]
	v_add_f64_e32 v[160:161], v[144:145], v[168:169]
	v_fma_f64 v[26:27], v[190:191], s[18:19], v[24:25]
	v_fma_f64 v[110:111], v[190:191], s[14:15], -v[108:109]
	v_fma_f64 v[134:135], v[172:173], s[20:21], -v[132:133]
	v_add_f64_e32 v[0:1], v[166:167], v[0:1]
	v_add_f64_e32 v[2:3], v[164:165], v[2:3]
	v_add_f64_e64 v[166:167], v[146:147], -v[170:171]
	v_fma_f64 v[146:147], v[10:11], s[10:11], v[16:17]
	v_fma_f64 v[16:17], v[10:11], s[10:11], -v[16:17]
	v_add_f64_e64 v[164:165], v[144:145], -v[168:169]
	v_fma_f64 v[144:145], v[10:11], s[6:7], v[14:15]
	v_fma_f64 v[14:15], v[10:11], s[6:7], -v[14:15]
	v_mul_f64_e32 v[128:129], s[52:53], v[176:177]
	v_mul_f64_e32 v[72:73], s[40:41], v[176:177]
	v_add_f64_e32 v[0:1], v[170:171], v[0:1]
	v_add_f64_e32 v[2:3], v[168:169], v[2:3]
	v_add_f64_e64 v[170:171], v[148:149], -v[156:157]
	v_add_f64_e32 v[148:149], v[156:157], v[148:149]
	v_add_f64_e64 v[168:169], v[150:151], -v[158:159]
	v_add_f64_e32 v[150:151], v[158:159], v[150:151]
	v_add_f64_e32 v[144:145], v[138:139], v[144:145]
	;; [unrolled: 1-line block ×3, first 2 shown]
	v_fma_f64 v[130:131], v[174:175], s[14:15], -v[128:129]
	v_mul_f64_e32 v[60:61], s[52:53], v[164:165]
	v_add_f64_e32 v[0:1], v[158:159], v[0:1]
	v_add_f64_e32 v[4:5], v[156:157], v[2:3]
	v_fma_f64 v[156:157], v[10:11], s[14:15], v[18:19]
	v_fma_f64 v[158:159], v[10:11], s[16:17], v[20:21]
	v_fma_f64 v[18:19], v[10:11], s[14:15], -v[18:19]
	v_fma_f64 v[20:21], v[10:11], s[16:17], -v[20:21]
	v_mul_f64_e32 v[250:251], s[48:49], v[170:171]
	v_mul_f64_e32 v[120:121], s[24:25], v[170:171]
	;; [unrolled: 1-line block ×3, first 2 shown]
	v_add_f64_e32 v[2:3], v[247:248], v[0:1]
	v_add_f64_e32 v[0:1], v[245:246], v[4:5]
	v_fma_f64 v[244:245], v[12:13], s[18:19], v[225:226]
	v_fma_f64 v[225:226], v[12:13], s[18:19], -v[225:226]
	v_mul_f64_e32 v[4:5], s[30:31], v[6:7]
	v_mul_f64_e32 v[6:7], s[28:29], v[6:7]
	v_fma_f64 v[246:247], v[12:13], s[20:21], v[227:228]
	v_fma_f64 v[227:228], v[12:13], s[20:21], -v[227:228]
	v_add_f64_e32 v[64:65], v[138:139], v[18:19]
	v_fma_f64 v[122:123], v[150:151], s[10:11], -v[120:121]
	scratch_store_b128 off, v[0:3], off offset:504 ; 16-byte Folded Spill
	v_add_f64_e32 v[0:1], v[138:139], v[16:17]
	v_add_f64_e32 v[244:245], v[136:137], v[244:245]
	v_fma_f64 v[142:143], v[10:11], s[4:5], v[4:5]
	v_fma_f64 v[4:5], v[10:11], s[4:5], -v[4:5]
	v_fma_f64 v[215:216], v[10:11], s[22:23], -v[6:7]
	v_fma_f64 v[6:7], v[10:11], s[22:23], v[6:7]
	v_mul_f64_e32 v[10:11], s[30:31], v[8:9]
	v_mul_f64_e32 v[8:9], s[28:29], v[8:9]
	v_add_f64_e32 v[246:247], v[136:137], v[246:247]
	v_add_f64_e32 v[16:17], v[138:139], v[211:212]
	;; [unrolled: 1-line block ×3, first 2 shown]
	v_mul_f64_e32 v[223:224], s[24:25], v[168:169]
	scratch_store_b64 off, v[0:1], off offset:656 ; 8-byte Folded Spill
	v_add_f64_e32 v[0:1], v[136:137], v[219:220]
	v_add_f64_e32 v[219:220], v[138:139], v[20:21]
	;; [unrolled: 1-line block ×4, first 2 shown]
	v_fma_f64 v[229:230], v[12:13], s[4:5], -v[10:11]
	v_fma_f64 v[248:249], v[12:13], s[22:23], v[8:9]
	v_fma_f64 v[8:9], v[12:13], s[22:23], -v[8:9]
	v_fma_f64 v[10:11], v[12:13], s[4:5], v[10:11]
	v_add_f64_e32 v[12:13], v[138:139], v[142:143]
	scratch_store_b64 off, v[0:1], off offset:648 ; 8-byte Folded Spill
	v_add_f64_e32 v[0:1], v[138:139], v[156:157]
	v_mul_f64_e32 v[156:157], s[42:43], v[176:177]
	v_add_f64_e32 v[142:143], v[136:137], v[229:230]
	v_add_f64_e32 v[229:230], v[136:137], v[232:233]
	;; [unrolled: 1-line block ×5, first 2 shown]
	v_mul_f64_e32 v[146:147], s[34:35], v[176:177]
	v_mul_f64_e32 v[248:249], s[48:49], v[168:169]
	scratch_store_b64 off, v[0:1], off offset:640 ; 8-byte Folded Spill
	v_add_f64_e32 v[0:1], v[136:137], v[237:238]
	v_mul_f64_e32 v[237:238], s[36:37], v[164:165]
	scratch_store_b64 off, v[0:1], off offset:632 ; 8-byte Folded Spill
	v_add_f64_e32 v[0:1], v[138:139], v[158:159]
	v_fma_f64 v[158:159], v[174:175], s[22:23], -v[72:73]
	scratch_store_b64 off, v[0:1], off offset:624 ; 8-byte Folded Spill
	v_add_f64_e32 v[0:1], v[136:137], v[242:243]
	v_mov_b32_e32 v243, v214
	v_mul_f64_e32 v[213:214], s[24:25], v[186:187]
	v_mul_f64_e32 v[241:242], s[38:39], v[184:185]
	scratch_store_b64 off, v[0:1], off offset:616 ; 8-byte Folded Spill
	v_add_f64_e32 v[0:1], v[138:139], v[22:23]
	scratch_store_b64 off, v[0:1], off offset:608 ; 8-byte Folded Spill
	v_add_f64_e32 v[0:1], v[136:137], v[225:226]
	v_mul_f64_e32 v[225:226], s[36:37], v[166:167]
	scratch_store_b64 off, v[0:1], off offset:600 ; 8-byte Folded Spill
	v_add_f64_e32 v[0:1], v[138:139], v[140:141]
	v_mul_f64_e32 v[140:141], s[38:39], v[164:165]
	;; [unrolled: 3-line block ×4, first 2 shown]
	v_fma_f64 v[138:139], v[162:163], s[6:7], v[140:141]
	scratch_store_b64 off, v[0:1], off offset:560 ; 8-byte Folded Spill
	v_add_f64_e32 v[0:1], v[136:137], v[8:9]
	v_fma_f64 v[8:9], v[150:151], s[22:23], v[6:7]
	v_fma_f64 v[6:7], v[150:151], s[22:23], -v[6:7]
	scratch_store_b64 off, v[0:1], off offset:552 ; 8-byte Folded Spill
	v_add_f64_e32 v[8:9], v[8:9], v[12:13]
	v_mul_f64_e32 v[12:13], s[40:41], v[168:169]
	v_add_f64_e32 v[4:5], v[6:7], v[4:5]
	v_mul_f64_e32 v[0:1], s[24:25], v[194:195]
	s_delay_alu instid0(VALU_DEP_4) | instskip(NEXT) | instid1(VALU_DEP_4)
	v_add_f64_e32 v[8:9], v[138:139], v[8:9]
	v_fma_f64 v[136:137], v[148:149], s[22:23], -v[12:13]
	v_fma_f64 v[6:7], v[148:149], s[22:23], v[12:13]
	s_delay_alu instid0(VALU_DEP_2) | instskip(SKIP_1) | instid1(VALU_DEP_3)
	v_add_f64_e32 v[136:137], v[136:137], v[142:143]
	v_mul_f64_e32 v[142:143], s[38:39], v[166:167]
	v_add_f64_e32 v[6:7], v[6:7], v[10:11]
	v_fma_f64 v[10:11], v[162:163], s[6:7], -v[140:141]
	v_mul_f64_e32 v[140:141], s[46:47], v[186:187]
	s_delay_alu instid0(VALU_DEP_4) | instskip(NEXT) | instid1(VALU_DEP_3)
	v_fma_f64 v[138:139], v[160:161], s[6:7], -v[142:143]
	v_add_f64_e32 v[4:5], v[10:11], v[4:5]
	v_fma_f64 v[10:11], v[160:161], s[6:7], v[142:143]
	v_fma_f64 v[142:143], v[148:149], s[4:5], v[58:59]
	s_delay_alu instid0(VALU_DEP_4) | instskip(SKIP_1) | instid1(VALU_DEP_4)
	v_add_f64_e32 v[136:137], v[138:139], v[136:137]
	v_fma_f64 v[138:139], v[174:175], s[20:21], v[146:147]
	v_add_f64_e32 v[6:7], v[10:11], v[6:7]
	v_fma_f64 v[10:11], v[174:175], s[20:21], -v[146:147]
	v_fma_f64 v[146:147], v[162:163], s[14:15], -v[60:61]
	v_add_f64_e32 v[142:143], v[142:143], v[221:222]
	v_add_f64_e32 v[8:9], v[138:139], v[8:9]
	v_fma_f64 v[138:139], v[154:155], s[20:21], -v[227:228]
	v_add_f64_e32 v[4:5], v[10:11], v[4:5]
	v_fma_f64 v[10:11], v[154:155], s[20:21], v[227:228]
	v_mul_f64_e32 v[227:228], s[34:35], v[207:208]
	s_delay_alu instid0(VALU_DEP_4) | instskip(SKIP_1) | instid1(VALU_DEP_4)
	v_add_f64_e32 v[136:137], v[138:139], v[136:137]
	v_fma_f64 v[138:139], v[172:173], s[10:11], v[213:214]
	v_add_f64_e32 v[6:7], v[10:11], v[6:7]
	v_fma_f64 v[10:11], v[172:173], s[10:11], -v[213:214]
	v_mul_f64_e32 v[213:214], s[34:35], v[205:206]
	s_delay_alu instid0(VALU_DEP_4)
	v_add_f64_e32 v[8:9], v[138:139], v[8:9]
	v_fma_f64 v[138:139], v[152:153], s[10:11], -v[0:1]
	v_fma_f64 v[0:1], v[152:153], s[10:11], v[0:1]
	v_add_f64_e32 v[4:5], v[10:11], v[4:5]
	v_mul_f64_e32 v[10:11], s[42:43], v[164:165]
	v_add_f64_e32 v[8:9], v[26:27], v[8:9]
	v_mul_f64_e32 v[26:27], s[44:45], v[184:185]
	v_add_f64_e32 v[0:1], v[0:1], v[6:7]
	v_fma_f64 v[6:7], v[190:191], s[18:19], -v[24:25]
	v_add_f64_e32 v[136:137], v[138:139], v[136:137]
	v_fma_f64 v[12:13], v[162:163], s[16:17], v[10:11]
	v_add_f64_e32 v[8:9], v[30:31], v[8:9]
	v_fma_f64 v[138:139], v[182:183], s[18:19], -v[26:27]
	v_mul_f64_e32 v[30:31], s[46:47], v[207:208]
	v_add_f64_e32 v[4:5], v[6:7], v[4:5]
	v_fma_f64 v[6:7], v[182:183], s[18:19], v[26:27]
	v_add_f64_e32 v[22:23], v[34:35], v[8:9]
	v_add_f64_e32 v[136:137], v[138:139], v[136:137]
	v_fma_f64 v[138:139], v[180:181], s[14:15], -v[30:31]
	v_mul_f64_e32 v[8:9], s[26:27], v[198:199]
	v_add_f64_e32 v[0:1], v[6:7], v[0:1]
	v_fma_f64 v[6:7], v[188:189], s[14:15], -v[28:29]
	s_delay_alu instid0(VALU_DEP_4) | instskip(NEXT) | instid1(VALU_DEP_4)
	v_add_f64_e32 v[136:137], v[138:139], v[136:137]
	v_fma_f64 v[34:35], v[196:197], s[16:17], -v[8:9]
	v_fma_f64 v[8:9], v[196:197], s[16:17], v[8:9]
	s_delay_alu instid0(VALU_DEP_4) | instskip(SKIP_4) | instid1(VALU_DEP_4)
	v_add_f64_e32 v[4:5], v[6:7], v[4:5]
	v_fma_f64 v[6:7], v[180:181], s[14:15], v[30:31]
	v_fma_f64 v[138:139], v[188:189], s[16:17], -v[54:55]
	v_add_f64_e32 v[20:21], v[34:35], v[136:137]
	v_mul_f64_e32 v[136:137], s[46:47], v[194:195]
	v_add_f64_e32 v[0:1], v[6:7], v[0:1]
	v_fma_f64 v[6:7], v[201:202], s[16:17], -v[32:33]
	s_delay_alu instid0(VALU_DEP_2) | instskip(NEXT) | instid1(VALU_DEP_2)
	v_add_f64_e32 v[0:1], v[8:9], v[0:1]
	v_add_f64_e32 v[2:3], v[6:7], v[4:5]
	scratch_store_b128 off, v[20:23], off offset:520 ; 16-byte Folded Spill
	v_mul_f64_e32 v[6:7], s[44:45], v[168:169]
	scratch_store_b128 off, v[0:3], off offset:536 ; 16-byte Folded Spill
	v_mul_f64_e32 v[0:1], s[44:45], v[170:171]
	v_fma_f64 v[8:9], v[148:149], s[18:19], -v[6:7]
	v_fma_f64 v[6:7], v[148:149], s[18:19], v[6:7]
	v_mul_f64_e32 v[2:3], s[52:53], v[170:171]
	s_delay_alu instid0(VALU_DEP_4) | instskip(NEXT) | instid1(VALU_DEP_4)
	v_fma_f64 v[4:5], v[150:151], s[18:19], v[0:1]
	v_add_f64_e32 v[8:9], v[8:9], v[229:230]
	v_mul_f64_e32 v[229:230], s[46:47], v[203:204]
	v_fma_f64 v[0:1], v[150:151], s[18:19], -v[0:1]
	v_add_f64_e32 v[6:7], v[6:7], v[217:218]
	v_mul_f64_e32 v[203:204], s[24:25], v[203:204]
	v_add_f64_e32 v[4:5], v[4:5], v[144:145]
	s_delay_alu instid0(VALU_DEP_4) | instskip(SKIP_1) | instid1(VALU_DEP_3)
	v_add_f64_e32 v[0:1], v[0:1], v[14:15]
	v_fma_f64 v[14:15], v[148:149], s[20:21], v[248:249]
	v_add_f64_e32 v[4:5], v[12:13], v[4:5]
	v_mul_f64_e32 v[12:13], s[42:43], v[166:167]
	s_delay_alu instid0(VALU_DEP_3) | instskip(NEXT) | instid1(VALU_DEP_2)
	v_add_f64_e32 v[14:15], v[14:15], v[215:216]
	v_fma_f64 v[24:25], v[160:161], s[16:17], -v[12:13]
	s_delay_alu instid0(VALU_DEP_1) | instskip(SKIP_1) | instid1(VALU_DEP_1)
	v_add_f64_e32 v[8:9], v[24:25], v[8:9]
	v_mul_f64_e32 v[24:25], s[50:51], v[176:177]
	v_fma_f64 v[26:27], v[174:175], s[10:11], v[24:25]
	s_delay_alu instid0(VALU_DEP_1) | instskip(SKIP_1) | instid1(VALU_DEP_1)
	v_add_f64_e32 v[4:5], v[26:27], v[4:5]
	v_mul_f64_e32 v[26:27], s[50:51], v[178:179]
	v_fma_f64 v[28:29], v[154:155], s[10:11], -v[26:27]
	s_delay_alu instid0(VALU_DEP_1) | instskip(SKIP_1) | instid1(VALU_DEP_1)
	v_add_f64_e32 v[8:9], v[28:29], v[8:9]
	v_mul_f64_e32 v[28:29], s[28:29], v[186:187]
	v_fma_f64 v[30:31], v[172:173], s[22:23], v[28:29]
	s_delay_alu instid0(VALU_DEP_1) | instskip(SKIP_1) | instid1(VALU_DEP_1)
	v_add_f64_e32 v[4:5], v[30:31], v[4:5]
	v_mul_f64_e32 v[30:31], s[28:29], v[194:195]
	;; [unrolled: 8-line block ×3, first 2 shown]
	v_fma_f64 v[144:145], v[182:183], s[4:5], -v[34:35]
	s_delay_alu instid0(VALU_DEP_1) | instskip(SKIP_1) | instid1(VALU_DEP_1)
	v_add_f64_e32 v[8:9], v[144:145], v[8:9]
	v_fma_f64 v[144:145], v[188:189], s[20:21], v[213:214]
	v_add_f64_e32 v[4:5], v[144:145], v[4:5]
	v_fma_f64 v[144:145], v[180:181], s[20:21], -v[227:228]
	s_delay_alu instid0(VALU_DEP_1) | instskip(SKIP_1) | instid1(VALU_DEP_1)
	v_add_f64_e32 v[8:9], v[144:145], v[8:9]
	v_fma_f64 v[144:145], v[201:202], s[14:15], v[229:230]
	v_add_f64_e32 v[22:23], v[144:145], v[4:5]
	v_mul_f64_e32 v[4:5], s[46:47], v[198:199]
	s_mov_b32 s47, 0x3fe0d888
	s_mov_b32 s46, s38
	s_wait_alu 0xfffe
	v_mul_f64_e32 v[104:105], s[46:47], v[186:187]
	s_delay_alu instid0(VALU_DEP_2) | instskip(SKIP_1) | instid1(VALU_DEP_3)
	v_fma_f64 v[144:145], v[196:197], s[14:15], -v[4:5]
	v_fma_f64 v[4:5], v[196:197], s[14:15], v[4:5]
	v_fma_f64 v[106:107], v[172:173], s[6:7], -v[104:105]
	s_delay_alu instid0(VALU_DEP_3)
	v_add_f64_e32 v[20:21], v[144:145], v[8:9]
	v_fma_f64 v[8:9], v[162:163], s[16:17], -v[10:11]
	v_mul_f64_e32 v[144:145], s[42:43], v[178:179]
	scratch_store_b128 off, v[20:23], off offset:584 ; 16-byte Folded Spill
	v_add_f64_e32 v[0:1], v[8:9], v[0:1]
	v_fma_f64 v[8:9], v[160:161], s[16:17], v[12:13]
	v_mul_f64_e32 v[20:21], s[30:31], v[198:199]
	s_delay_alu instid0(VALU_DEP_2) | instskip(SKIP_2) | instid1(VALU_DEP_2)
	v_add_f64_e32 v[6:7], v[8:9], v[6:7]
	v_fma_f64 v[8:9], v[174:175], s[10:11], -v[24:25]
	v_mul_f64_e32 v[24:25], s[52:53], v[168:169]
	v_add_f64_e32 v[0:1], v[8:9], v[0:1]
	v_fma_f64 v[8:9], v[154:155], s[10:11], v[26:27]
	v_mul_f64_e32 v[26:27], s[28:29], v[164:165]
	s_delay_alu instid0(VALU_DEP_4) | instskip(SKIP_1) | instid1(VALU_DEP_4)
	v_fma_f64 v[10:11], v[148:149], s[14:15], -v[24:25]
	v_fma_f64 v[24:25], v[148:149], s[14:15], v[24:25]
	v_add_f64_e32 v[6:7], v[8:9], v[6:7]
	v_fma_f64 v[8:9], v[172:173], s[22:23], -v[28:29]
	v_fma_f64 v[12:13], v[162:163], s[22:23], v[26:27]
	v_mul_f64_e32 v[28:29], s[28:29], v[166:167]
	v_add_f64_e32 v[10:11], v[10:11], v[235:236]
	v_mul_f64_e32 v[235:236], s[30:31], v[207:208]
	v_fma_f64 v[26:27], v[162:163], s[22:23], -v[26:27]
	v_add_f64_e32 v[0:1], v[8:9], v[0:1]
	v_fma_f64 v[8:9], v[152:153], s[22:23], v[30:31]
	v_mul_f64_e32 v[30:31], s[38:39], v[176:177]
	s_delay_alu instid0(VALU_DEP_2) | instskip(SKIP_2) | instid1(VALU_DEP_2)
	v_add_f64_e32 v[6:7], v[8:9], v[6:7]
	v_fma_f64 v[8:9], v[190:191], s[4:5], -v[32:33]
	v_mul_f64_e32 v[32:33], s[38:39], v[178:179]
	v_add_f64_e32 v[0:1], v[8:9], v[0:1]
	v_fma_f64 v[8:9], v[182:183], s[4:5], v[34:35]
	v_mul_f64_e32 v[34:35], s[26:27], v[186:187]
	v_mul_f64_e32 v[186:187], s[30:31], v[186:187]
	s_delay_alu instid0(VALU_DEP_3) | instskip(SKIP_2) | instid1(VALU_DEP_2)
	v_add_f64_e32 v[6:7], v[8:9], v[6:7]
	v_fma_f64 v[8:9], v[188:189], s[20:21], -v[213:214]
	v_mul_f64_e32 v[213:214], s[26:27], v[194:195]
	v_add_f64_e32 v[0:1], v[8:9], v[0:1]
	v_fma_f64 v[8:9], v[180:181], s[20:21], v[227:228]
	v_mul_f64_e32 v[227:228], s[48:49], v[192:193]
	s_delay_alu instid0(VALU_DEP_2) | instskip(SKIP_2) | instid1(VALU_DEP_3)
	v_add_f64_e32 v[8:9], v[8:9], v[6:7]
	v_fma_f64 v[6:7], v[201:202], s[14:15], -v[229:230]
	v_mul_f64_e32 v[229:230], s[48:49], v[184:185]
	v_add_f64_e32 v[209:210], v[4:5], v[8:9]
	v_fma_f64 v[8:9], v[150:151], s[14:15], v[2:3]
	s_delay_alu instid0(VALU_DEP_4)
	v_add_f64_e32 v[211:212], v[6:7], v[0:1]
	v_mul_f64_e32 v[6:7], s[24:25], v[164:165]
	v_mul_f64_e32 v[4:5], s[30:31], v[176:177]
	;; [unrolled: 1-line block ×5, first 2 shown]
	v_fma_f64 v[2:3], v[150:151], s[14:15], -v[2:3]
	v_add_f64_e32 v[8:9], v[8:9], v[232:233]
	v_mul_f64_e32 v[232:233], s[30:31], v[205:206]
	v_fma_f64 v[215:216], v[162:163], s[10:11], -v[6:7]
	v_fma_f64 v[86:87], v[174:175], s[4:5], -v[4:5]
	v_mul_f64_e32 v[205:206], s[28:29], v[205:206]
	v_fma_f64 v[6:7], v[162:163], s[10:11], v[6:7]
	v_fma_f64 v[4:5], v[174:175], s[4:5], v[4:5]
	v_add_f64_e32 v[8:9], v[12:13], v[8:9]
	v_fma_f64 v[12:13], v[160:161], s[22:23], -v[28:29]
	s_delay_alu instid0(VALU_DEP_1) | instskip(SKIP_1) | instid1(VALU_DEP_1)
	v_add_f64_e32 v[10:11], v[12:13], v[10:11]
	v_fma_f64 v[12:13], v[174:175], s[6:7], v[30:31]
	v_add_f64_e32 v[8:9], v[12:13], v[8:9]
	v_fma_f64 v[12:13], v[154:155], s[6:7], -v[32:33]
	s_delay_alu instid0(VALU_DEP_1) | instskip(SKIP_1) | instid1(VALU_DEP_1)
	v_add_f64_e32 v[10:11], v[12:13], v[10:11]
	;; [unrolled: 5-line block ×5, first 2 shown]
	v_fma_f64 v[10:11], v[201:202], s[18:19], v[36:37]
	v_add_f64_e32 v[50:51], v[10:11], v[8:9]
	v_fma_f64 v[8:9], v[196:197], s[18:19], -v[38:39]
	v_mul_f64_e32 v[10:11], s[42:43], v[170:171]
	s_delay_alu instid0(VALU_DEP_2) | instskip(SKIP_2) | instid1(VALU_DEP_2)
	v_add_f64_e32 v[48:49], v[8:9], v[12:13]
	v_fma_f64 v[12:13], v[150:151], s[20:21], -v[250:251]
	v_mul_f64_e32 v[8:9], s[42:43], v[168:169]
	v_add_f64_e32 v[12:13], v[12:13], v[18:19]
	v_fma_f64 v[18:19], v[162:163], s[18:19], -v[237:238]
	s_delay_alu instid0(VALU_DEP_1) | instskip(SKIP_1) | instid1(VALU_DEP_1)
	v_add_f64_e32 v[12:13], v[18:19], v[12:13]
	v_fma_f64 v[18:19], v[160:161], s[18:19], v[225:226]
	v_add_f64_e32 v[14:15], v[18:19], v[14:15]
	v_fma_f64 v[18:19], v[174:175], s[16:17], -v[156:157]
	s_delay_alu instid0(VALU_DEP_1) | instskip(SKIP_1) | instid1(VALU_DEP_1)
	v_add_f64_e32 v[12:13], v[18:19], v[12:13]
	v_fma_f64 v[18:19], v[154:155], s[16:17], v[144:145]
	;; [unrolled: 5-line block ×6, first 2 shown]
	v_add_f64_e32 v[12:13], v[12:13], v[18:19]
	v_fma_f64 v[18:19], v[150:151], s[16:17], -v[10:11]
	s_delay_alu instid0(VALU_DEP_1) | instskip(SKIP_1) | instid1(VALU_DEP_2)
	v_add_f64_e32 v[16:17], v[18:19], v[16:17]
	v_fma_f64 v[18:19], v[148:149], s[16:17], v[8:9]
	v_add_f64_e32 v[16:17], v[215:216], v[16:17]
	s_delay_alu instid0(VALU_DEP_2) | instskip(SKIP_1) | instid1(VALU_DEP_3)
	v_add_f64_e32 v[18:19], v[18:19], v[246:247]
	v_mul_f64_e32 v[246:247], s[24:25], v[166:167]
	v_add_f64_e32 v[16:17], v[86:87], v[16:17]
	v_mul_f64_e32 v[86:87], s[30:31], v[178:179]
	s_delay_alu instid0(VALU_DEP_3) | instskip(NEXT) | instid1(VALU_DEP_3)
	v_fma_f64 v[215:216], v[160:161], s[10:11], v[246:247]
	v_add_f64_e32 v[16:17], v[106:107], v[16:17]
	v_mul_f64_e32 v[106:107], s[46:47], v[194:195]
	s_delay_alu instid0(VALU_DEP_3) | instskip(SKIP_1) | instid1(VALU_DEP_4)
	v_add_f64_e32 v[18:19], v[215:216], v[18:19]
	v_fma_f64 v[215:216], v[154:155], s[4:5], v[86:87]
	v_add_f64_e32 v[16:17], v[110:111], v[16:17]
	v_mul_f64_e32 v[110:111], s[52:53], v[184:185]
	v_mul_f64_e32 v[184:185], s[26:27], v[184:185]
	s_delay_alu instid0(VALU_DEP_4)
	v_add_f64_e32 v[18:19], v[215:216], v[18:19]
	v_fma_f64 v[215:216], v[152:153], s[6:7], v[106:107]
	v_add_f64_e32 v[16:17], v[114:115], v[16:17]
	v_mul_f64_e32 v[114:115], s[44:45], v[207:208]
	s_mov_b32 s45, 0x3fc7851a
	s_mov_b32 s44, s30
	s_delay_alu instid0(VALU_DEP_3) | instskip(SKIP_3) | instid1(VALU_DEP_2)
	v_add_f64_e32 v[18:19], v[215:216], v[18:19]
	v_fma_f64 v[215:216], v[182:183], s[14:15], v[110:111]
	s_wait_alu 0xfffe
	v_mul_f64_e32 v[124:125], s[44:45], v[166:167]
	v_add_f64_e32 v[18:19], v[215:216], v[18:19]
	v_fma_f64 v[215:216], v[180:181], s[18:19], v[114:115]
	s_delay_alu instid0(VALU_DEP_3) | instskip(NEXT) | instid1(VALU_DEP_2)
	v_fma_f64 v[126:127], v[160:161], s[4:5], v[124:125]
	v_add_f64_e32 v[215:216], v[215:216], v[18:19]
	v_fma_f64 v[18:19], v[201:202], s[22:23], -v[116:117]
	s_delay_alu instid0(VALU_DEP_1) | instskip(SKIP_1) | instid1(VALU_DEP_1)
	v_add_f64_e32 v[18:19], v[18:19], v[16:17]
	v_fma_f64 v[16:17], v[196:197], s[22:23], v[118:119]
	v_add_f64_e32 v[16:17], v[16:17], v[215:216]
	v_fma_f64 v[215:216], v[148:149], s[10:11], v[223:224]
	s_delay_alu instid0(VALU_DEP_1) | instskip(SKIP_1) | instid1(VALU_DEP_2)
	v_add_f64_e32 v[215:216], v[215:216], v[244:245]
	v_mul_f64_e32 v[244:245], s[44:45], v[164:165]
	v_add_f64_e32 v[126:127], v[126:127], v[215:216]
	s_delay_alu instid0(VALU_DEP_2) | instskip(NEXT) | instid1(VALU_DEP_1)
	v_fma_f64 v[217:218], v[162:163], s[4:5], -v[244:245]
	v_add_f64_e32 v[122:123], v[217:218], v[122:123]
	s_delay_alu instid0(VALU_DEP_1) | instskip(SKIP_1) | instid1(VALU_DEP_2)
	v_add_f64_e32 v[122:123], v[130:131], v[122:123]
	v_mul_f64_e32 v[130:131], s[52:53], v[178:179]
	v_add_f64_e32 v[122:123], v[134:135], v[122:123]
	s_delay_alu instid0(VALU_DEP_2) | instskip(SKIP_2) | instid1(VALU_DEP_3)
	v_fma_f64 v[215:216], v[154:155], s[14:15], v[130:131]
	v_mul_f64_e32 v[134:135], s[34:35], v[194:195]
	v_mul_f64_e32 v[194:195], s[30:31], v[194:195]
	v_add_f64_e32 v[126:127], v[215:216], v[126:127]
	s_delay_alu instid0(VALU_DEP_3) | instskip(NEXT) | instid1(VALU_DEP_1)
	v_fma_f64 v[215:216], v[152:153], s[20:21], v[134:135]
	v_add_f64_e32 v[126:127], v[215:216], v[126:127]
	v_fma_f64 v[215:216], v[190:191], s[22:23], -v[0:1]
	v_fma_f64 v[0:1], v[190:191], s[22:23], v[0:1]
	s_delay_alu instid0(VALU_DEP_2) | instskip(SKIP_1) | instid1(VALU_DEP_2)
	v_add_f64_e32 v[122:123], v[215:216], v[122:123]
	v_fma_f64 v[215:216], v[182:183], s[22:23], v[52:53]
	v_add_f64_e32 v[122:123], v[138:139], v[122:123]
	v_mul_f64_e32 v[138:139], s[42:43], v[207:208]
	s_delay_alu instid0(VALU_DEP_3) | instskip(SKIP_1) | instid1(VALU_DEP_3)
	v_add_f64_e32 v[126:127], v[215:216], v[126:127]
	v_mul_f64_e32 v[207:208], s[28:29], v[207:208]
	v_fma_f64 v[215:216], v[180:181], s[16:17], v[138:139]
	s_delay_alu instid0(VALU_DEP_1) | instskip(SKIP_1) | instid1(VALU_DEP_1)
	v_add_f64_e32 v[126:127], v[215:216], v[126:127]
	v_fma_f64 v[215:216], v[201:202], s[6:7], -v[56:57]
	v_add_f64_e32 v[217:218], v[215:216], v[122:123]
	v_mul_f64_e32 v[122:123], s[38:39], v[198:199]
	s_delay_alu instid0(VALU_DEP_1) | instskip(NEXT) | instid1(VALU_DEP_1)
	v_fma_f64 v[215:216], v[196:197], s[6:7], v[122:123]
	v_add_f64_e32 v[215:216], v[215:216], v[126:127]
	v_mul_f64_e32 v[126:127], s[30:31], v[170:171]
	s_delay_alu instid0(VALU_DEP_1) | instskip(NEXT) | instid1(VALU_DEP_1)
	v_fma_f64 v[22:23], v[150:151], s[4:5], -v[126:127]
	v_add_f64_e32 v[22:23], v[22:23], v[219:220]
	s_delay_alu instid0(VALU_DEP_1) | instskip(SKIP_1) | instid1(VALU_DEP_2)
	v_add_f64_e32 v[22:23], v[146:147], v[22:23]
	v_mul_f64_e32 v[146:147], s[52:53], v[166:167]
	v_add_f64_e32 v[22:23], v[158:159], v[22:23]
	s_delay_alu instid0(VALU_DEP_2) | instskip(SKIP_2) | instid1(VALU_DEP_3)
	v_fma_f64 v[219:220], v[160:161], s[14:15], v[146:147]
	v_mul_f64_e32 v[158:159], s[40:41], v[178:179]
	v_mul_f64_e32 v[178:179], s[36:37], v[178:179]
	v_add_f64_e32 v[142:143], v[219:220], v[142:143]
	s_delay_alu instid0(VALU_DEP_3) | instskip(NEXT) | instid1(VALU_DEP_1)
	v_fma_f64 v[219:220], v[154:155], s[22:23], v[158:159]
	v_add_f64_e32 v[142:143], v[219:220], v[142:143]
	v_fma_f64 v[219:220], v[172:173], s[18:19], -v[74:75]
	s_delay_alu instid0(VALU_DEP_1) | instskip(SKIP_1) | instid1(VALU_DEP_1)
	v_add_f64_e32 v[22:23], v[219:220], v[22:23]
	v_fma_f64 v[219:220], v[152:153], s[18:19], v[76:77]
	v_add_f64_e32 v[142:143], v[219:220], v[142:143]
	v_fma_f64 v[219:220], v[190:191], s[6:7], -v[78:79]
	s_delay_alu instid0(VALU_DEP_1) | instskip(SKIP_1) | instid1(VALU_DEP_1)
	v_add_f64_e32 v[22:23], v[219:220], v[22:23]
	v_fma_f64 v[219:220], v[182:183], s[6:7], v[241:242]
	v_add_f64_e32 v[142:143], v[219:220], v[142:143]
	v_fma_f64 v[219:220], v[188:189], s[10:11], -v[80:81]
	s_delay_alu instid0(VALU_DEP_1) | instskip(SKIP_1) | instid1(VALU_DEP_2)
	v_add_f64_e32 v[22:23], v[219:220], v[22:23]
	v_fma_f64 v[219:220], v[180:181], s[10:11], v[254:255]
	v_add_f64_e32 v[221:222], v[84:85], v[22:23]
	v_mul_f64_e32 v[22:23], s[34:35], v[198:199]
	s_delay_alu instid0(VALU_DEP_3) | instskip(SKIP_1) | instid1(VALU_DEP_3)
	v_add_f64_e32 v[142:143], v[219:220], v[142:143]
	v_mul_f64_e32 v[198:199], s[24:25], v[198:199]
	v_fma_f64 v[84:85], v[196:197], s[20:21], v[22:23]
	v_fma_f64 v[22:23], v[196:197], s[20:21], -v[22:23]
	s_delay_alu instid0(VALU_DEP_2) | instskip(SKIP_1) | instid1(VALU_DEP_1)
	v_add_f64_e32 v[219:220], v[84:85], v[142:143]
	v_mul_f64_e32 v[84:85], s[46:47], v[170:171]
	v_fma_f64 v[142:143], v[150:151], s[6:7], -v[84:85]
	s_delay_alu instid0(VALU_DEP_1) | instskip(SKIP_1) | instid1(VALU_DEP_1)
	v_add_f64_e32 v[142:143], v[142:143], v[64:65]
	v_mul_f64_e32 v[64:65], s[46:47], v[168:169]
	v_fma_f64 v[66:67], v[148:149], s[6:7], v[64:65]
	s_delay_alu instid0(VALU_DEP_1) | instskip(SKIP_1) | instid1(VALU_DEP_1)
	v_add_f64_e32 v[66:67], v[66:67], v[68:69]
	v_mul_f64_e32 v[68:69], s[34:35], v[164:165]
	v_fma_f64 v[70:71], v[162:163], s[20:21], -v[68:69]
	s_delay_alu instid0(VALU_DEP_1) | instskip(SKIP_1) | instid1(VALU_DEP_1)
	v_add_f64_e32 v[70:71], v[70:71], v[142:143]
	v_mul_f64_e32 v[142:143], s[34:35], v[166:167]
	v_fma_f64 v[164:165], v[160:161], s[20:21], v[142:143]
	s_delay_alu instid0(VALU_DEP_1) | instskip(SKIP_1) | instid1(VALU_DEP_1)
	v_add_f64_e32 v[66:67], v[164:165], v[66:67]
	v_fma_f64 v[164:165], v[174:175], s[18:19], -v[176:177]
	v_add_f64_e32 v[70:71], v[164:165], v[70:71]
	v_fma_f64 v[164:165], v[154:155], s[18:19], v[178:179]
	s_delay_alu instid0(VALU_DEP_1) | instskip(SKIP_1) | instid1(VALU_DEP_1)
	v_add_f64_e32 v[66:67], v[164:165], v[66:67]
	v_fma_f64 v[164:165], v[172:173], s[4:5], -v[186:187]
	v_add_f64_e32 v[70:71], v[164:165], v[70:71]
	;; [unrolled: 5-line block ×5, first 2 shown]
	v_fma_f64 v[70:71], v[196:197], s[10:11], v[198:199]
	s_delay_alu instid0(VALU_DEP_1)
	v_add_f64_e32 v[164:165], v[70:71], v[66:67]
	scratch_load_b64 v[66:67], off, off offset:656 th:TH_LOAD_LU ; 8-byte Folded Reload
	s_wait_loadcnt 0x0
	v_add_f64_e32 v[2:3], v[2:3], v[66:67]
	scratch_load_b64 v[66:67], off, off offset:648 th:TH_LOAD_LU ; 8-byte Folded Reload
	v_add_f64_e32 v[2:3], v[26:27], v[2:3]
	v_fma_f64 v[26:27], v[160:161], s[22:23], v[28:29]
	v_fma_f64 v[28:29], v[196:197], s[18:19], v[38:39]
	s_wait_loadcnt 0x0
	v_add_f64_e32 v[24:25], v[24:25], v[66:67]
	s_delay_alu instid0(VALU_DEP_1) | instskip(SKIP_1) | instid1(VALU_DEP_1)
	v_add_f64_e32 v[24:25], v[26:27], v[24:25]
	v_fma_f64 v[26:27], v[174:175], s[6:7], -v[30:31]
	v_add_f64_e32 v[2:3], v[26:27], v[2:3]
	v_fma_f64 v[26:27], v[154:155], s[6:7], v[32:33]
	s_delay_alu instid0(VALU_DEP_1) | instskip(SKIP_1) | instid1(VALU_DEP_1)
	v_add_f64_e32 v[24:25], v[26:27], v[24:25]
	v_fma_f64 v[26:27], v[172:173], s[16:17], -v[34:35]
	v_add_f64_e32 v[2:3], v[26:27], v[2:3]
	v_fma_f64 v[26:27], v[152:153], s[16:17], v[213:214]
	v_mov_b32_e32 v214, v243
	s_delay_alu instid0(VALU_DEP_2) | instskip(SKIP_1) | instid1(VALU_DEP_1)
	v_add_f64_e32 v[24:25], v[26:27], v[24:25]
	v_fma_f64 v[26:27], v[190:191], s[20:21], -v[227:228]
	v_add_f64_e32 v[2:3], v[26:27], v[2:3]
	v_fma_f64 v[26:27], v[182:183], s[20:21], v[229:230]
	s_delay_alu instid0(VALU_DEP_1)
	v_add_f64_e32 v[24:25], v[26:27], v[24:25]
	v_fma_f64 v[26:27], v[188:189], s[4:5], -v[232:233]
	v_mov_b32_e32 v233, v200
	scratch_load_b32 v200, off, off offset:492 ; 4-byte Folded Reload
	v_add_f64_e32 v[2:3], v[26:27], v[2:3]
	v_fma_f64 v[26:27], v[180:181], s[4:5], v[235:236]
	s_delay_alu instid0(VALU_DEP_1) | instskip(SKIP_1) | instid1(VALU_DEP_2)
	v_add_f64_e32 v[24:25], v[26:27], v[24:25]
	v_fma_f64 v[26:27], v[201:202], s[18:19], -v[36:37]
	v_add_f64_e32 v[168:169], v[28:29], v[24:25]
	scratch_load_b64 v[24:25], off, off offset:640 th:TH_LOAD_LU ; 8-byte Folded Reload
	v_add_f64_e32 v[170:171], v[26:27], v[2:3]
	scratch_load_b64 v[26:27], off, off offset:632 th:TH_LOAD_LU ; 8-byte Folded Reload
	v_fma_f64 v[2:3], v[150:151], s[6:7], v[84:85]
	v_fma_f64 v[28:29], v[196:197], s[10:11], -v[198:199]
	s_wait_loadcnt 0x1
	s_delay_alu instid0(VALU_DEP_2) | instskip(SKIP_2) | instid1(VALU_DEP_1)
	v_add_f64_e32 v[2:3], v[2:3], v[24:25]
	v_fma_f64 v[24:25], v[148:149], s[6:7], -v[64:65]
	s_wait_loadcnt 0x0
	v_add_f64_e32 v[24:25], v[24:25], v[26:27]
	v_fma_f64 v[26:27], v[162:163], s[20:21], v[68:69]
	s_delay_alu instid0(VALU_DEP_1) | instskip(SKIP_1) | instid1(VALU_DEP_1)
	v_add_f64_e32 v[2:3], v[26:27], v[2:3]
	v_fma_f64 v[26:27], v[160:161], s[20:21], -v[142:143]
	v_add_f64_e32 v[24:25], v[26:27], v[24:25]
	v_fma_f64 v[26:27], v[174:175], s[18:19], v[176:177]
	s_delay_alu instid0(VALU_DEP_1) | instskip(SKIP_1) | instid1(VALU_DEP_1)
	v_add_f64_e32 v[2:3], v[26:27], v[2:3]
	v_fma_f64 v[26:27], v[154:155], s[18:19], -v[178:179]
	;; [unrolled: 5-line block ×5, first 2 shown]
	v_add_f64_e32 v[24:25], v[26:27], v[24:25]
	v_fma_f64 v[26:27], v[201:202], s[10:11], v[203:204]
	s_delay_alu instid0(VALU_DEP_2)
	v_add_f64_e32 v[176:177], v[28:29], v[24:25]
	scratch_load_b64 v[24:25], off, off offset:624 th:TH_LOAD_LU ; 8-byte Folded Reload
	v_add_f64_e32 v[178:179], v[26:27], v[2:3]
	scratch_load_b64 v[26:27], off, off offset:616 th:TH_LOAD_LU ; 8-byte Folded Reload
	v_fma_f64 v[2:3], v[150:151], s[4:5], v[126:127]
	s_wait_loadcnt 0x1
	s_delay_alu instid0(VALU_DEP_1) | instskip(SKIP_1) | instid1(VALU_DEP_1)
	v_add_f64_e32 v[2:3], v[2:3], v[24:25]
	v_fma_f64 v[24:25], v[162:163], s[14:15], v[60:61]
	v_add_f64_e32 v[2:3], v[24:25], v[2:3]
	v_fma_f64 v[24:25], v[174:175], s[22:23], v[72:73]
	s_delay_alu instid0(VALU_DEP_1) | instskip(SKIP_1) | instid1(VALU_DEP_1)
	v_add_f64_e32 v[2:3], v[24:25], v[2:3]
	v_fma_f64 v[24:25], v[172:173], s[18:19], v[74:75]
	v_add_f64_e32 v[2:3], v[24:25], v[2:3]
	v_fma_f64 v[24:25], v[190:191], s[6:7], v[78:79]
	s_delay_alu instid0(VALU_DEP_1) | instskip(SKIP_2) | instid1(VALU_DEP_1)
	v_add_f64_e32 v[2:3], v[24:25], v[2:3]
	v_fma_f64 v[24:25], v[148:149], s[4:5], -v[58:59]
	s_wait_loadcnt 0x0
	v_add_f64_e32 v[24:25], v[24:25], v[26:27]
	v_fma_f64 v[26:27], v[160:161], s[14:15], -v[146:147]
	s_delay_alu instid0(VALU_DEP_1) | instskip(SKIP_1) | instid1(VALU_DEP_1)
	v_add_f64_e32 v[24:25], v[26:27], v[24:25]
	v_fma_f64 v[26:27], v[154:155], s[22:23], -v[158:159]
	v_add_f64_e32 v[24:25], v[26:27], v[24:25]
	v_fma_f64 v[26:27], v[152:153], s[18:19], -v[76:77]
	s_delay_alu instid0(VALU_DEP_1) | instskip(SKIP_1) | instid1(VALU_DEP_1)
	v_add_f64_e32 v[24:25], v[26:27], v[24:25]
	v_fma_f64 v[26:27], v[182:183], s[6:7], -v[241:242]
	v_add_f64_e32 v[24:25], v[26:27], v[24:25]
	v_fma_f64 v[26:27], v[188:189], s[10:11], v[80:81]
	s_delay_alu instid0(VALU_DEP_1) | instskip(SKIP_1) | instid1(VALU_DEP_1)
	v_add_f64_e32 v[2:3], v[26:27], v[2:3]
	v_fma_f64 v[26:27], v[180:181], s[10:11], -v[254:255]
	v_add_f64_e32 v[24:25], v[26:27], v[24:25]
	v_fma_f64 v[26:27], v[201:202], s[20:21], v[82:83]
	s_delay_alu instid0(VALU_DEP_2)
	v_add_f64_e32 v[184:185], v[22:23], v[24:25]
	s_clause 0x1
	scratch_load_b64 v[22:23], off, off offset:608 th:TH_LOAD_LU
	scratch_load_b64 v[24:25], off, off offset:600 th:TH_LOAD_LU
	v_add_f64_e32 v[186:187], v[26:27], v[2:3]
	v_fma_f64 v[2:3], v[150:151], s[10:11], v[120:121]
	s_wait_loadcnt 0x1
	s_delay_alu instid0(VALU_DEP_1) | instskip(SKIP_2) | instid1(VALU_DEP_1)
	v_add_f64_e32 v[2:3], v[2:3], v[22:23]
	v_fma_f64 v[22:23], v[148:149], s[10:11], -v[223:224]
	s_wait_loadcnt 0x0
	v_add_f64_e32 v[22:23], v[22:23], v[24:25]
	v_fma_f64 v[24:25], v[162:163], s[4:5], v[244:245]
	s_delay_alu instid0(VALU_DEP_1) | instskip(SKIP_1) | instid1(VALU_DEP_1)
	v_add_f64_e32 v[2:3], v[24:25], v[2:3]
	v_fma_f64 v[24:25], v[160:161], s[4:5], -v[124:125]
	v_add_f64_e32 v[22:23], v[24:25], v[22:23]
	v_fma_f64 v[24:25], v[174:175], s[14:15], v[128:129]
	s_delay_alu instid0(VALU_DEP_1) | instskip(SKIP_1) | instid1(VALU_DEP_1)
	v_add_f64_e32 v[2:3], v[24:25], v[2:3]
	v_fma_f64 v[24:25], v[154:155], s[14:15], -v[130:131]
	v_add_f64_e32 v[22:23], v[24:25], v[22:23]
	v_fma_f64 v[24:25], v[172:173], s[20:21], v[132:133]
	s_delay_alu instid0(VALU_DEP_1) | instskip(SKIP_1) | instid1(VALU_DEP_2)
	v_add_f64_e32 v[2:3], v[24:25], v[2:3]
	v_fma_f64 v[24:25], v[152:153], s[20:21], -v[134:135]
	v_add_f64_e32 v[0:1], v[0:1], v[2:3]
	s_delay_alu instid0(VALU_DEP_2) | instskip(SKIP_2) | instid1(VALU_DEP_2)
	v_add_f64_e32 v[22:23], v[24:25], v[22:23]
	v_fma_f64 v[2:3], v[182:183], s[22:23], -v[52:53]
	v_fma_f64 v[24:25], v[196:197], s[6:7], -v[122:123]
	v_add_f64_e32 v[2:3], v[2:3], v[22:23]
	v_fma_f64 v[22:23], v[188:189], s[16:17], v[54:55]
	s_delay_alu instid0(VALU_DEP_1) | instskip(SKIP_1) | instid1(VALU_DEP_1)
	v_add_f64_e32 v[0:1], v[22:23], v[0:1]
	v_fma_f64 v[22:23], v[180:181], s[16:17], -v[138:139]
	v_add_f64_e32 v[2:3], v[22:23], v[2:3]
	v_fma_f64 v[22:23], v[201:202], s[6:7], v[56:57]
	s_delay_alu instid0(VALU_DEP_2) | instskip(SKIP_4) | instid1(VALU_DEP_1)
	v_add_f64_e32 v[192:193], v[24:25], v[2:3]
	scratch_load_b64 v[2:3], off, off offset:576 th:TH_LOAD_LU ; 8-byte Folded Reload
	v_add_f64_e32 v[194:195], v[22:23], v[0:1]
	v_fma_f64 v[0:1], v[150:151], s[16:17], v[10:11]
	s_wait_loadcnt 0x0
	v_add_f64_e32 v[0:1], v[0:1], v[2:3]
	v_fma_f64 v[2:3], v[148:149], s[16:17], -v[8:9]
	scratch_load_b64 v[8:9], off, off offset:568 th:TH_LOAD_LU ; 8-byte Folded Reload
	v_add_f64_e32 v[0:1], v[6:7], v[0:1]
	v_fma_f64 v[6:7], v[160:161], s[10:11], -v[246:247]
	s_delay_alu instid0(VALU_DEP_2)
	v_add_f64_e32 v[0:1], v[4:5], v[0:1]
	v_fma_f64 v[4:5], v[154:155], s[4:5], -v[86:87]
	s_wait_loadcnt 0x0
	v_add_f64_e32 v[2:3], v[2:3], v[8:9]
	s_clause 0x1
	scratch_load_b64 v[8:9], off, off offset:552 th:TH_LOAD_LU
	scratch_load_b64 v[26:27], off, off offset:484
	v_add_f64_e32 v[2:3], v[6:7], v[2:3]
	v_fma_f64 v[6:7], v[196:197], s[22:23], -v[118:119]
	s_delay_alu instid0(VALU_DEP_2) | instskip(SKIP_1) | instid1(VALU_DEP_1)
	v_add_f64_e32 v[2:3], v[4:5], v[2:3]
	v_fma_f64 v[4:5], v[172:173], s[6:7], v[104:105]
	v_add_f64_e32 v[0:1], v[4:5], v[0:1]
	v_fma_f64 v[4:5], v[152:153], s[6:7], -v[106:107]
	s_delay_alu instid0(VALU_DEP_1) | instskip(SKIP_1) | instid1(VALU_DEP_1)
	v_add_f64_e32 v[2:3], v[4:5], v[2:3]
	v_fma_f64 v[4:5], v[190:191], s[14:15], v[108:109]
	v_add_f64_e32 v[0:1], v[4:5], v[0:1]
	v_fma_f64 v[4:5], v[182:183], s[14:15], -v[110:111]
	s_delay_alu instid0(VALU_DEP_1) | instskip(SKIP_1) | instid1(VALU_DEP_1)
	v_add_f64_e32 v[2:3], v[4:5], v[2:3]
	v_fma_f64 v[4:5], v[188:189], s[18:19], v[112:113]
	v_add_f64_e32 v[0:1], v[4:5], v[0:1]
	v_fma_f64 v[4:5], v[180:181], s[18:19], -v[114:115]
	s_delay_alu instid0(VALU_DEP_1) | instskip(SKIP_1) | instid1(VALU_DEP_2)
	v_add_f64_e32 v[2:3], v[4:5], v[2:3]
	v_fma_f64 v[4:5], v[201:202], s[22:23], v[116:117]
	v_add_f64_e32 v[203:204], v[6:7], v[2:3]
	scratch_load_b64 v[6:7], off, off offset:560 th:TH_LOAD_LU ; 8-byte Folded Reload
	v_add_f64_e32 v[205:206], v[4:5], v[0:1]
	v_fma_f64 v[0:1], v[150:151], s[20:21], v[250:251]
	v_fma_f64 v[2:3], v[148:149], s[20:21], -v[248:249]
	v_fma_f64 v[4:5], v[162:163], s[18:19], v[237:238]
	s_wait_loadcnt 0x2
	s_delay_alu instid0(VALU_DEP_2) | instskip(SKIP_4) | instid1(VALU_DEP_2)
	v_add_f64_e32 v[2:3], v[2:3], v[8:9]
	v_fma_f64 v[8:9], v[174:175], s[16:17], v[156:157]
	s_wait_loadcnt 0x0
	v_add_f64_e32 v[0:1], v[0:1], v[6:7]
	v_fma_f64 v[6:7], v[160:161], s[18:19], -v[225:226]
	v_add_f64_e32 v[0:1], v[4:5], v[0:1]
	v_fma_f64 v[4:5], v[154:155], s[16:17], -v[144:145]
	s_delay_alu instid0(VALU_DEP_3) | instskip(SKIP_1) | instid1(VALU_DEP_4)
	v_add_f64_e32 v[2:3], v[6:7], v[2:3]
	v_fma_f64 v[6:7], v[172:173], s[14:15], v[140:141]
	v_add_f64_e32 v[0:1], v[8:9], v[0:1]
	v_fma_f64 v[8:9], v[152:153], s[14:15], -v[136:137]
	s_delay_alu instid0(VALU_DEP_4) | instskip(SKIP_1) | instid1(VALU_DEP_4)
	v_add_f64_e32 v[2:3], v[4:5], v[2:3]
	v_fma_f64 v[4:5], v[190:191], s[10:11], v[46:47]
	v_add_f64_e32 v[0:1], v[6:7], v[0:1]
	v_fma_f64 v[6:7], v[182:183], s[10:11], -v[44:45]
	s_delay_alu instid0(VALU_DEP_4) | instskip(SKIP_1) | instid1(VALU_DEP_4)
	v_add_f64_e32 v[2:3], v[8:9], v[2:3]
	v_fma_f64 v[8:9], v[188:189], s[6:7], v[42:43]
	v_add_f64_e32 v[0:1], v[4:5], v[0:1]
	v_fma_f64 v[4:5], v[180:181], s[6:7], -v[62:63]
	s_delay_alu instid0(VALU_DEP_4)
	v_add_f64_e32 v[2:3], v[6:7], v[2:3]
	v_fma_f64 v[6:7], v[201:202], s[4:5], v[40:41]
	s_clause 0x1
	scratch_load_b32 v202, off, off offset:500
	scratch_load_b32 v201, off, off offset:496
	v_add_f64_e32 v[0:1], v[8:9], v[0:1]
	v_fma_f64 v[8:9], v[196:197], s[4:5], -v[20:21]
	v_add_f64_e32 v[2:3], v[4:5], v[2:3]
	s_delay_alu instid0(VALU_DEP_3) | instskip(SKIP_1) | instid1(VALU_DEP_3)
	v_add_f64_e32 v[150:151], v[6:7], v[0:1]
	v_mul_lo_u16 v0, v200, 17
	v_add_f64_e32 v[148:149], v[8:9], v[2:3]
	scratch_load_b128 v[1:4], off, off offset:504 th:TH_LOAD_LU ; 16-byte Folded Reload
	v_dual_mov_b32 v213, v26 :: v_dual_and_b32 v0, 0xffff, v0
	s_delay_alu instid0(VALU_DEP_1)
	v_lshl_add_u32 v0, v0, 4, v252
	s_wait_loadcnt 0x0
	ds_store_b128 v0, v[1:4]
	ds_store_b128 v0, v[12:15] offset:16
	ds_store_b128 v0, v[16:19] offset:32
	;; [unrolled: 1-line block ×7, first 2 shown]
	scratch_load_b128 v[1:4], off, off offset:536 th:TH_LOAD_LU ; 16-byte Folded Reload
	s_wait_loadcnt 0x0
	ds_store_b128 v0, v[1:4] offset:128
	scratch_load_b128 v[1:4], off, off offset:520 th:TH_LOAD_LU ; 16-byte Folded Reload
	s_wait_loadcnt 0x0
	ds_store_b128 v0, v[1:4] offset:144
	;; [unrolled: 3-line block ×3, first 2 shown]
	ds_store_b128 v0, v[48:51] offset:176
	ds_store_b128 v0, v[176:179] offset:192
	;; [unrolled: 1-line block ×6, first 2 shown]
.LBB0_13:
	s_or_b32 exec_lo, exec_lo, s33
	global_wb scope:SCOPE_SE
	s_wait_storecnt_dscnt 0x0
	s_barrier_signal -1
	s_barrier_wait -1
	global_inv scope:SCOPE_SE
	ds_load_b128 v[0:3], v231 offset:4352
	ds_load_b128 v[4:7], v231 offset:8704
	;; [unrolled: 1-line block ×12, first 2 shown]
	s_clause 0x6
	scratch_load_b128 v[80:83], off, off offset:64 th:TH_LOAD_LU
	scratch_load_b128 v[104:107], off, off offset:96 th:TH_LOAD_LU
	scratch_load_b128 v[112:115], off, off offset:128 th:TH_LOAD_LU
	scratch_load_b128 v[108:111], off, off offset:112 th:TH_LOAD_LU
	scratch_load_b128 v[68:71], off, off th:TH_LOAD_LU
	scratch_load_b128 v[74:77], off, off offset:32 th:TH_LOAD_LU
	scratch_load_b128 v[118:121], off, off offset:176 th:TH_LOAD_LU
	s_wait_loadcnt_dscnt 0x609
	v_mul_f64_e32 v[28:29], v[82:83], v[10:11]
	v_mul_f64_e32 v[30:31], v[82:83], v[8:9]
	scratch_load_b128 v[82:85], off, off offset:80 th:TH_LOAD_LU ; 16-byte Folded Reload
	s_wait_loadcnt 0x4
	v_mul_f64_e32 v[24:25], v[110:111], v[6:7]
	s_wait_loadcnt_dscnt 0x306
	v_mul_f64_e32 v[40:41], v[70:71], v[138:139]
	v_mul_f64_e32 v[42:43], v[70:71], v[136:137]
	s_wait_loadcnt_dscnt 0x205
	v_mul_f64_e32 v[44:45], v[76:77], v[142:143]
	v_mul_f64_e32 v[46:47], v[76:77], v[140:141]
	s_clause 0x1
	scratch_load_b128 v[76:79], off, off offset:48 th:TH_LOAD_LU
	scratch_load_b128 v[70:73], off, off offset:16 th:TH_LOAD_LU
	v_mul_f64_e32 v[26:27], v[110:111], v[4:5]
	v_mul_f64_e32 v[32:33], v[106:107], v[14:15]
	;; [unrolled: 1-line block ×3, first 2 shown]
	v_fma_f64 v[28:29], v[80:81], v[8:9], v[28:29]
	v_fma_f64 v[30:31], v[80:81], v[10:11], -v[30:31]
	v_fma_f64 v[24:25], v[108:109], v[4:5], v[24:25]
	v_fma_f64 v[26:27], v[108:109], v[6:7], -v[26:27]
	;; [unrolled: 2-line block ×3, first 2 shown]
	s_wait_loadcnt 0x2
	v_mul_f64_e32 v[36:37], v[84:85], v[18:19]
	v_mul_f64_e32 v[38:39], v[84:85], v[16:17]
	scratch_load_b128 v[84:87], off, off offset:144 th:TH_LOAD_LU ; 16-byte Folded Reload
	v_mul_f64_e32 v[20:21], v[114:115], v[2:3]
	v_mul_f64_e32 v[22:23], v[114:115], v[0:1]
	scratch_load_b128 v[114:117], off, off offset:160 th:TH_LOAD_LU ; 16-byte Folded Reload
	s_wait_loadcnt_dscnt 0x304
	v_mul_f64_e32 v[48:49], v[78:79], v[146:147]
	v_mul_f64_e32 v[50:51], v[78:79], v[144:145]
	s_wait_loadcnt_dscnt 0x203
	v_mul_f64_e32 v[52:53], v[72:73], v[150:151]
	v_mul_f64_e32 v[54:55], v[72:73], v[148:149]
	s_wait_dscnt 0x2
	v_mul_f64_e32 v[56:57], v[120:121], v[154:155]
	v_mul_f64_e32 v[58:59], v[120:121], v[152:153]
	v_fma_f64 v[16:17], v[82:83], v[16:17], v[36:37]
	v_fma_f64 v[18:19], v[82:83], v[18:19], -v[38:39]
	v_fma_f64 v[36:37], v[68:69], v[136:137], v[40:41]
	v_fma_f64 v[20:21], v[112:113], v[0:1], v[20:21]
	v_fma_f64 v[22:23], v[112:113], v[2:3], -v[22:23]
	v_fma_f64 v[38:39], v[68:69], v[138:139], -v[42:43]
	v_fma_f64 v[40:41], v[74:75], v[140:141], v[44:45]
	v_fma_f64 v[42:43], v[74:75], v[142:143], -v[46:47]
	v_fma_f64 v[44:45], v[76:77], v[144:145], v[48:49]
	;; [unrolled: 2-line block ×4, first 2 shown]
	v_fma_f64 v[54:55], v[118:119], v[154:155], -v[58:59]
	ds_load_b128 v[0:3], v231
	ds_load_b128 v[4:7], v231 offset:1088
	ds_load_b128 v[8:11], v231 offset:2176
	;; [unrolled: 1-line block ×3, first 2 shown]
	global_wb scope:SCOPE_SE
	s_wait_loadcnt_dscnt 0x0
	s_barrier_signal -1
	s_barrier_wait -1
	global_inv scope:SCOPE_SE
	v_add_f64_e64 v[68:69], v[4:5], -v[16:17]
	v_add_f64_e64 v[70:71], v[6:7], -v[18:19]
	;; [unrolled: 1-line block ×6, first 2 shown]
	v_mul_f64_e32 v[64:65], v[86:87], v[162:163]
	v_mul_f64_e32 v[66:67], v[86:87], v[160:161]
	;; [unrolled: 1-line block ×4, first 2 shown]
	s_delay_alu instid0(VALU_DEP_2) | instskip(NEXT) | instid1(VALU_DEP_2)
	v_fma_f64 v[56:57], v[114:115], v[156:157], v[60:61]
	v_fma_f64 v[58:59], v[114:115], v[158:159], -v[62:63]
	v_fma_f64 v[60:61], v[84:85], v[160:161], v[64:65]
	v_fma_f64 v[62:63], v[84:85], v[162:163], -v[66:67]
	v_add_f64_e64 v[64:65], v[0:1], -v[24:25]
	v_add_f64_e64 v[66:67], v[2:3], -v[26:27]
	;; [unrolled: 1-line block ×6, first 2 shown]
	v_fma_f64 v[48:49], v[4:5], 2.0, -v[68:69]
	v_fma_f64 v[50:51], v[6:7], 2.0, -v[70:71]
	;; [unrolled: 1-line block ×4, first 2 shown]
	v_add_f64_e32 v[4:5], v[68:69], v[18:19]
	v_add_f64_e64 v[56:57], v[12:13], -v[56:57]
	v_add_f64_e64 v[58:59], v[14:15], -v[58:59]
	;; [unrolled: 1-line block ×4, first 2 shown]
	v_fma_f64 v[44:45], v[0:1], 2.0, -v[64:65]
	v_fma_f64 v[46:47], v[2:3], 2.0, -v[66:67]
	;; [unrolled: 1-line block ×8, first 2 shown]
	v_add_f64_e32 v[0:1], v[64:65], v[26:27]
	v_add_f64_e64 v[2:3], v[66:67], -v[24:25]
	v_add_f64_e64 v[18:19], v[74:75], -v[28:29]
	v_fma_f64 v[76:77], v[12:13], 2.0, -v[56:57]
	v_fma_f64 v[78:79], v[14:15], 2.0, -v[58:59]
	;; [unrolled: 1-line block ×4, first 2 shown]
	v_add_f64_e64 v[12:13], v[48:49], -v[6:7]
	v_add_f64_e64 v[6:7], v[70:71], -v[16:17]
	v_add_f64_e32 v[16:17], v[72:73], v[30:31]
	v_add_f64_e64 v[8:9], v[44:45], -v[20:21]
	v_add_f64_e64 v[10:11], v[46:47], -v[22:23]
	;; [unrolled: 1-line block ×5, first 2 shown]
	v_fma_f64 v[32:33], v[64:65], 2.0, -v[0:1]
	v_fma_f64 v[34:35], v[66:67], 2.0, -v[2:3]
	v_add_f64_e32 v[24:25], v[56:57], v[38:39]
	v_add_f64_e64 v[26:27], v[58:59], -v[36:37]
	v_fma_f64 v[36:37], v[68:69], 2.0, -v[4:5]
	v_add_f64_e64 v[28:29], v[76:77], -v[42:43]
	v_add_f64_e64 v[30:31], v[78:79], -v[52:53]
	scratch_load_b32 v52, off, off offset:472 th:TH_LOAD_LU ; 4-byte Folded Reload
	v_fma_f64 v[38:39], v[70:71], 2.0, -v[6:7]
	v_fma_f64 v[40:41], v[44:45], 2.0, -v[8:9]
	;; [unrolled: 1-line block ×11, first 2 shown]
	s_wait_loadcnt 0x0
	ds_store_b128 v52, v[8:11] offset:544
	ds_store_b128 v52, v[0:3] offset:816
	ds_store_b128 v52, v[40:43]
	ds_store_b128 v52, v[32:35] offset:272
	scratch_load_b32 v0, off, off offset:468 th:TH_LOAD_LU ; 4-byte Folded Reload
	v_fma_f64 v[144:145], v[76:77], 2.0, -v[28:29]
	v_fma_f64 v[146:147], v[78:79], 2.0, -v[30:31]
	s_wait_loadcnt 0x0
	ds_store_b128 v0, v[44:47]
	ds_store_b128 v0, v[36:39] offset:272
	ds_store_b128 v0, v[12:15] offset:544
	;; [unrolled: 1-line block ×3, first 2 shown]
	scratch_load_b32 v0, off, off offset:432 th:TH_LOAD_LU ; 4-byte Folded Reload
	s_wait_loadcnt 0x0
	ds_store_b128 v0, v[136:139]
	ds_store_b128 v0, v[48:51] offset:272
	ds_store_b128 v0, v[20:23] offset:544
	;; [unrolled: 1-line block ×3, first 2 shown]
	ds_store_b128 v253, v[144:147]
	ds_store_b128 v253, v[140:143] offset:272
	ds_store_b128 v253, v[28:31] offset:544
	;; [unrolled: 1-line block ×3, first 2 shown]
	global_wb scope:SCOPE_SE
	s_wait_dscnt 0x0
	s_barrier_signal -1
	s_barrier_wait -1
	global_inv scope:SCOPE_SE
	ds_load_b128 v[0:3], v231 offset:4352
	ds_load_b128 v[4:7], v231 offset:8704
	;; [unrolled: 1-line block ×12, first 2 shown]
	s_clause 0x5
	scratch_load_b128 v[126:129], off, off offset:256 th:TH_LOAD_LU
	scratch_load_b128 v[134:137], off, off offset:304 th:TH_LOAD_LU
	;; [unrolled: 1-line block ×6, first 2 shown]
	s_wait_loadcnt_dscnt 0x50b
	v_mul_f64_e32 v[48:49], v[128:129], v[2:3]
	v_mul_f64_e32 v[50:51], v[128:129], v[0:1]
	s_wait_dscnt 0x8
	v_mul_f64_e32 v[60:61], v[128:129], v[14:15]
	v_mul_f64_e32 v[62:63], v[128:129], v[12:13]
	scratch_load_b128 v[128:131], off, off offset:272 th:TH_LOAD_LU ; 16-byte Folded Reload
	s_wait_loadcnt 0x4
	v_mul_f64_e32 v[56:57], v[114:115], v[10:11]
	v_mul_f64_e32 v[58:59], v[114:115], v[8:9]
	s_wait_dscnt 0x6
	v_mul_f64_e32 v[68:69], v[114:115], v[22:23]
	v_mul_f64_e32 v[70:71], v[114:115], v[20:21]
	scratch_load_b128 v[114:117], off, off offset:208 th:TH_LOAD_LU ; 16-byte Folded Reload
	s_wait_loadcnt 0x3
	v_mul_f64_e32 v[52:53], v[124:125], v[6:7]
	v_mul_f64_e32 v[54:55], v[124:125], v[4:5]
	;; [unrolled: 1-line block ×4, first 2 shown]
	s_wait_dscnt 0x5
	v_mul_f64_e32 v[74:75], v[120:121], v[24:25]
	s_wait_dscnt 0x1
	v_mul_f64_e32 v[104:105], v[136:137], v[42:43]
	v_mul_f64_e32 v[106:107], v[136:137], v[40:41]
	;; [unrolled: 1-line block ×3, first 2 shown]
	s_wait_loadcnt 0x2
	v_mul_f64_e32 v[86:87], v[140:141], v[36:37]
	v_mul_f64_e32 v[84:85], v[140:141], v[38:39]
	v_fma_f64 v[48:49], v[126:127], v[0:1], v[48:49]
	v_fma_f64 v[50:51], v[126:127], v[2:3], -v[50:51]
	v_fma_f64 v[60:61], v[126:127], v[12:13], v[60:61]
	v_fma_f64 v[62:63], v[126:127], v[14:15], -v[62:63]
	;; [unrolled: 2-line block ×6, first 2 shown]
	v_fma_f64 v[26:27], v[118:119], v[26:27], -v[74:75]
	v_fma_f64 v[40:41], v[134:135], v[40:41], v[104:105]
	v_fma_f64 v[42:43], v[134:135], v[42:43], -v[106:107]
	v_fma_f64 v[24:25], v[118:119], v[24:25], v[72:73]
	;; [unrolled: 2-line block ×3, first 2 shown]
	v_add_f64_e64 v[56:57], v[48:49], -v[56:57]
	v_add_f64_e64 v[58:59], v[50:51], -v[58:59]
	s_wait_loadcnt 0x1
	v_mul_f64_e32 v[76:77], v[130:131], v[30:31]
	v_mul_f64_e32 v[78:79], v[130:131], v[28:29]
	scratch_load_b128 v[130:133], off, off offset:288 th:TH_LOAD_LU ; 16-byte Folded Reload
	ds_load_b128 v[0:3], v231
	ds_load_b128 v[4:7], v231 offset:1088
	ds_load_b128 v[8:11], v231 offset:2176
	;; [unrolled: 1-line block ×3, first 2 shown]
	global_wb scope:SCOPE_SE
	s_wait_loadcnt_dscnt 0x0
	v_mul_f64_e32 v[82:83], v[116:117], v[32:33]
	v_mul_f64_e32 v[80:81], v[116:117], v[34:35]
	s_barrier_signal -1
	s_barrier_wait -1
	global_inv scope:SCOPE_SE
	v_add_f64_e64 v[52:53], v[0:1], -v[52:53]
	v_add_f64_e64 v[54:55], v[2:3], -v[54:55]
	;; [unrolled: 1-line block ×8, first 2 shown]
	v_fma_f64 v[22:23], v[48:49], 2.0, -v[56:57]
	v_fma_f64 v[28:29], v[128:129], v[28:29], v[76:77]
	v_fma_f64 v[30:31], v[128:129], v[30:31], -v[78:79]
	v_fma_f64 v[34:35], v[114:115], v[34:35], -v[82:83]
	v_fma_f64 v[32:33], v[114:115], v[32:33], v[80:81]
	v_fma_f64 v[42:43], v[0:1], 2.0, -v[52:53]
	v_add_f64_e32 v[0:1], v[52:53], v[58:59]
	v_fma_f64 v[48:49], v[4:5], 2.0, -v[64:65]
	v_fma_f64 v[40:41], v[60:61], 2.0, -v[16:17]
	v_add_f64_e32 v[4:5], v[64:65], v[18:19]
	v_fma_f64 v[76:77], v[12:13], 2.0, -v[72:73]
	v_fma_f64 v[78:79], v[14:15], 2.0, -v[74:75]
	v_add_f64_e64 v[68:69], v[8:9], -v[28:29]
	v_add_f64_e64 v[70:71], v[10:11], -v[30:31]
	;; [unrolled: 1-line block ×3, first 2 shown]
	v_fma_f64 v[34:35], v[50:51], 2.0, -v[58:59]
	v_add_f64_e64 v[28:29], v[24:25], -v[32:33]
	v_fma_f64 v[50:51], v[6:7], 2.0, -v[66:67]
	v_add_f64_e64 v[6:7], v[66:67], -v[16:17]
	v_add_f64_e64 v[12:13], v[42:43], -v[22:23]
	;; [unrolled: 1-line block ×3, first 2 shown]
	v_fma_f64 v[60:61], v[8:9], 2.0, -v[68:69]
	v_add_f64_e32 v[8:9], v[68:69], v[20:21]
	s_delay_alu instid0(VALU_DEP_3) | instskip(NEXT) | instid1(VALU_DEP_2)
	v_fma_f64 v[48:49], v[48:49], 2.0, -v[16:17]
	v_fma_f64 v[40:41], v[68:69], 2.0, -v[8:9]
	v_mul_f64_e32 v[110:111], v[132:133], v[44:45]
	v_mul_f64_e32 v[108:109], v[132:133], v[46:47]
	s_delay_alu instid0(VALU_DEP_2) | instskip(NEXT) | instid1(VALU_DEP_2)
	v_fma_f64 v[46:47], v[130:131], v[46:47], -v[110:111]
	v_fma_f64 v[44:45], v[130:131], v[44:45], v[108:109]
	s_delay_alu instid0(VALU_DEP_2) | instskip(SKIP_1) | instid1(VALU_DEP_3)
	v_add_f64_e64 v[30:31], v[38:39], -v[46:47]
	v_fma_f64 v[46:47], v[2:3], 2.0, -v[54:55]
	v_add_f64_e64 v[32:33], v[36:37], -v[44:45]
	v_fma_f64 v[44:45], v[62:63], 2.0, -v[18:19]
	v_fma_f64 v[62:63], v[10:11], 2.0, -v[70:71]
	;; [unrolled: 1-line block ×4, first 2 shown]
	v_add_f64_e64 v[2:3], v[54:55], -v[56:57]
	v_add_f64_e64 v[14:15], v[46:47], -v[34:35]
	v_fma_f64 v[26:27], v[36:37], 2.0, -v[32:33]
	v_add_f64_e64 v[18:19], v[50:51], -v[44:45]
	v_fma_f64 v[36:37], v[38:39], 2.0, -v[30:31]
	v_fma_f64 v[44:45], v[42:43], 2.0, -v[12:13]
	v_add_f64_e64 v[20:21], v[60:61], -v[10:11]
	v_add_f64_e64 v[10:11], v[70:71], -v[28:29]
	v_fma_f64 v[34:35], v[54:55], 2.0, -v[2:3]
	v_add_f64_e64 v[22:23], v[62:63], -v[24:25]
	v_add_f64_e32 v[24:25], v[72:73], v[30:31]
	v_fma_f64 v[38:39], v[66:67], 2.0, -v[6:7]
	v_fma_f64 v[46:47], v[46:47], 2.0, -v[14:15]
	v_add_f64_e64 v[28:29], v[76:77], -v[26:27]
	v_add_f64_e64 v[26:27], v[74:75], -v[32:33]
	v_fma_f64 v[32:33], v[52:53], 2.0, -v[0:1]
	v_fma_f64 v[50:51], v[50:51], 2.0, -v[18:19]
	v_add_f64_e64 v[30:31], v[78:79], -v[36:37]
	v_fma_f64 v[36:37], v[64:65], 2.0, -v[4:5]
	ds_store_b128 v231, v[12:15] offset:2176
	ds_store_b128 v231, v[0:3] offset:3264
	;; [unrolled: 1-line block ×4, first 2 shown]
	ds_store_b128 v231, v[44:47]
	ds_store_b128 v231, v[32:35] offset:1088
	ds_store_b128 v231, v[48:51] offset:4352
	;; [unrolled: 1-line block ×3, first 2 shown]
	scratch_load_b32 v0, off, off offset:480 th:TH_LOAD_LU ; 4-byte Folded Reload
	v_fma_f64 v[52:53], v[60:61], 2.0, -v[20:21]
	v_fma_f64 v[54:55], v[62:63], 2.0, -v[22:23]
	;; [unrolled: 1-line block ×7, first 2 shown]
	s_wait_loadcnt 0x0
	ds_store_b128 v0, v[52:55] offset:8704
	ds_store_b128 v0, v[40:43] offset:9792
	;; [unrolled: 1-line block ×4, first 2 shown]
	scratch_load_b32 v0, off, off offset:476 th:TH_LOAD_LU ; 4-byte Folded Reload
	s_wait_loadcnt 0x0
	ds_store_b128 v0, v[60:63] offset:13056
	ds_store_b128 v0, v[56:59] offset:14144
	;; [unrolled: 1-line block ×4, first 2 shown]
	global_wb scope:SCOPE_SE
	s_wait_dscnt 0x0
	s_barrier_signal -1
	s_barrier_wait -1
	global_inv scope:SCOPE_SE
	ds_load_b128 v[0:3], v231 offset:8704
	ds_load_b128 v[4:7], v231 offset:9792
	;; [unrolled: 1-line block ×8, first 2 shown]
	s_wait_dscnt 0x7
	v_mul_f64_e32 v[32:33], v[90:91], v[2:3]
	v_mul_f64_e32 v[34:35], v[90:91], v[0:1]
	s_wait_dscnt 0x6
	v_mul_f64_e32 v[36:37], v[94:95], v[6:7]
	v_mul_f64_e32 v[38:39], v[94:95], v[4:5]
	;; [unrolled: 3-line block ×8, first 2 shown]
	v_fma_f64 v[32:33], v[88:89], v[0:1], v[32:33]
	v_fma_f64 v[34:35], v[88:89], v[2:3], -v[34:35]
	v_fma_f64 v[36:37], v[92:93], v[4:5], v[36:37]
	v_fma_f64 v[38:39], v[92:93], v[6:7], -v[38:39]
	;; [unrolled: 2-line block ×8, first 2 shown]
	ds_load_b128 v[0:3], v231
	ds_load_b128 v[4:7], v231 offset:1088
	ds_load_b128 v[8:11], v231 offset:2176
	;; [unrolled: 1-line block ×7, first 2 shown]
	global_wb scope:SCOPE_SE
	s_wait_dscnt 0x0
	s_barrier_signal -1
	s_barrier_wait -1
	global_inv scope:SCOPE_SE
	v_add_f64_e64 v[32:33], v[0:1], -v[32:33]
	v_add_f64_e64 v[34:35], v[2:3], -v[34:35]
	;; [unrolled: 1-line block ×16, first 2 shown]
	v_fma_f64 v[0:1], v[0:1], 2.0, -v[32:33]
	v_fma_f64 v[2:3], v[2:3], 2.0, -v[34:35]
	;; [unrolled: 1-line block ×16, first 2 shown]
	ds_store_b128 v231, v[32:35] offset:4352
	ds_store_b128 v231, v[36:39] offset:5440
	;; [unrolled: 1-line block ×8, first 2 shown]
	ds_store_b128 v231, v[0:3]
	ds_store_b128 v231, v[4:7] offset:1088
	ds_store_b128 v231, v[8:11] offset:2176
	;; [unrolled: 1-line block ×7, first 2 shown]
	global_wb scope:SCOPE_SE
	s_wait_dscnt 0x0
	s_barrier_signal -1
	s_barrier_wait -1
	global_inv scope:SCOPE_SE
	ds_load_b128 v[0:3], v231 offset:8704
	ds_load_b128 v[4:7], v231 offset:9792
	;; [unrolled: 1-line block ×8, first 2 shown]
	scratch_load_b128 v[64:67], off, off offset:336 th:TH_LOAD_LU ; 16-byte Folded Reload
	s_wait_loadcnt_dscnt 0x7
	v_mul_f64_e32 v[32:33], v[66:67], v[2:3]
	v_mul_f64_e32 v[34:35], v[66:67], v[0:1]
	scratch_load_b128 v[66:69], off, off offset:352 th:TH_LOAD_LU ; 16-byte Folded Reload
	v_fma_f64 v[32:33], v[64:65], v[0:1], v[32:33]
	v_fma_f64 v[34:35], v[64:65], v[2:3], -v[34:35]
	s_wait_loadcnt_dscnt 0x6
	v_mul_f64_e32 v[36:37], v[68:69], v[6:7]
	v_mul_f64_e32 v[38:39], v[68:69], v[4:5]
	scratch_load_b128 v[68:71], off, off offset:368 th:TH_LOAD_LU ; 16-byte Folded Reload
	v_fma_f64 v[36:37], v[66:67], v[4:5], v[36:37]
	v_fma_f64 v[38:39], v[66:67], v[6:7], -v[38:39]
	s_wait_loadcnt_dscnt 0x5
	v_mul_f64_e32 v[40:41], v[70:71], v[10:11]
	v_mul_f64_e32 v[42:43], v[70:71], v[8:9]
	scratch_load_b128 v[70:73], off, off offset:384 th:TH_LOAD_LU ; 16-byte Folded Reload
	v_fma_f64 v[40:41], v[68:69], v[8:9], v[40:41]
	v_fma_f64 v[42:43], v[68:69], v[10:11], -v[42:43]
	s_wait_loadcnt_dscnt 0x4
	v_mul_f64_e32 v[44:45], v[72:73], v[14:15]
	v_mul_f64_e32 v[46:47], v[72:73], v[12:13]
	scratch_load_b128 v[72:75], off, off offset:400 th:TH_LOAD_LU ; 16-byte Folded Reload
	v_fma_f64 v[44:45], v[70:71], v[12:13], v[44:45]
	v_fma_f64 v[46:47], v[70:71], v[14:15], -v[46:47]
	s_wait_loadcnt_dscnt 0x3
	v_mul_f64_e32 v[48:49], v[74:75], v[18:19]
	v_mul_f64_e32 v[50:51], v[74:75], v[16:17]
	scratch_load_b128 v[74:77], off, off offset:416 th:TH_LOAD_LU ; 16-byte Folded Reload
	v_fma_f64 v[48:49], v[72:73], v[16:17], v[48:49]
	v_fma_f64 v[50:51], v[72:73], v[18:19], -v[50:51]
	s_wait_loadcnt_dscnt 0x2
	v_mul_f64_e32 v[52:53], v[76:77], v[22:23]
	v_mul_f64_e32 v[54:55], v[76:77], v[20:21]
	scratch_load_b128 v[76:79], off, off offset:436 th:TH_LOAD_LU ; 16-byte Folded Reload
	v_fma_f64 v[52:53], v[74:75], v[20:21], v[52:53]
	v_fma_f64 v[54:55], v[74:75], v[22:23], -v[54:55]
	s_wait_loadcnt_dscnt 0x1
	v_mul_f64_e32 v[56:57], v[78:79], v[26:27]
	v_mul_f64_e32 v[58:59], v[78:79], v[24:25]
	scratch_load_b128 v[78:81], off, off offset:452 th:TH_LOAD_LU ; 16-byte Folded Reload
	v_fma_f64 v[56:57], v[76:77], v[24:25], v[56:57]
	v_fma_f64 v[58:59], v[76:77], v[26:27], -v[58:59]
	s_wait_loadcnt_dscnt 0x0
	v_mul_f64_e32 v[60:61], v[80:81], v[30:31]
	v_mul_f64_e32 v[62:63], v[80:81], v[28:29]
	s_delay_alu instid0(VALU_DEP_2) | instskip(NEXT) | instid1(VALU_DEP_2)
	v_fma_f64 v[60:61], v[78:79], v[28:29], v[60:61]
	v_fma_f64 v[62:63], v[78:79], v[30:31], -v[62:63]
	ds_load_b128 v[0:3], v231
	ds_load_b128 v[4:7], v231 offset:1088
	ds_load_b128 v[8:11], v231 offset:2176
	;; [unrolled: 1-line block ×7, first 2 shown]
	s_wait_dscnt 0x7
	v_add_f64_e64 v[32:33], v[0:1], -v[32:33]
	v_add_f64_e64 v[34:35], v[2:3], -v[34:35]
	s_wait_dscnt 0x6
	v_add_f64_e64 v[36:37], v[4:5], -v[36:37]
	v_add_f64_e64 v[38:39], v[6:7], -v[38:39]
	;; [unrolled: 3-line block ×8, first 2 shown]
	v_fma_f64 v[0:1], v[0:1], 2.0, -v[32:33]
	v_fma_f64 v[2:3], v[2:3], 2.0, -v[34:35]
	;; [unrolled: 1-line block ×16, first 2 shown]
	ds_store_b128 v234, v[36:39] offset:9792
	ds_store_b128 v234, v[40:43] offset:10880
	;; [unrolled: 1-line block ×5, first 2 shown]
	ds_store_b128 v234, v[0:3]
	ds_store_b128 v234, v[4:7] offset:1088
	ds_store_b128 v234, v[8:11] offset:2176
	;; [unrolled: 1-line block ×10, first 2 shown]
	global_wb scope:SCOPE_SE
	s_wait_dscnt 0x0
	s_barrier_signal -1
	s_barrier_wait -1
	global_inv scope:SCOPE_SE
	s_and_b32 exec_lo, exec_lo, vcc_lo
	s_cbranch_execz .LBB0_15
; %bb.14:
	global_load_b128 v[0:3], v214, s[8:9]
	ds_load_b128 v[4:7], v239
	s_mov_b32 s4, 0x1e1e1e1e
	s_mov_b32 s5, 0x3f4e1e1e
	s_wait_loadcnt_dscnt 0x0
	v_mul_f64_e32 v[8:9], v[6:7], v[2:3]
	v_mul_f64_e32 v[2:3], v[4:5], v[2:3]
	s_delay_alu instid0(VALU_DEP_2) | instskip(NEXT) | instid1(VALU_DEP_2)
	v_fma_f64 v[4:5], v[4:5], v[0:1], v[8:9]
	v_fma_f64 v[0:1], v[0:1], v[6:7], -v[2:3]
	v_mad_co_u64_u32 v[6:7], null, s2, v213, 0
	v_mad_co_u64_u32 v[8:9], null, s0, v200, 0
	s_wait_alu 0xfffe
	s_delay_alu instid0(VALU_DEP_4) | instskip(NEXT) | instid1(VALU_DEP_4)
	v_mul_f64_e32 v[2:3], s[4:5], v[4:5]
	v_mul_f64_e32 v[4:5], s[4:5], v[0:1]
	s_delay_alu instid0(VALU_DEP_3) | instskip(NEXT) | instid1(VALU_DEP_1)
	v_dual_mov_b32 v0, v7 :: v_dual_mov_b32 v1, v9
	v_mad_co_u64_u32 v[9:10], null, s3, v213, v[0:1]
	s_delay_alu instid0(VALU_DEP_1) | instskip(SKIP_1) | instid1(VALU_DEP_1)
	v_mov_b32_e32 v7, v9
	v_mad_co_u64_u32 v[0:1], null, s1, v200, v[1:2]
	v_mov_b32_e32 v9, v0
	s_delay_alu instid0(VALU_DEP_3) | instskip(NEXT) | instid1(VALU_DEP_2)
	v_lshlrev_b64_e32 v[0:1], 4, v[6:7]
	v_lshlrev_b64_e32 v[6:7], 4, v[8:9]
	s_delay_alu instid0(VALU_DEP_2) | instskip(NEXT) | instid1(VALU_DEP_3)
	v_add_co_u32 v0, vcc_lo, s12, v0
	v_add_co_ci_u32_e32 v1, vcc_lo, s13, v1, vcc_lo
	s_delay_alu instid0(VALU_DEP_2) | instskip(SKIP_1) | instid1(VALU_DEP_2)
	v_add_co_u32 v6, vcc_lo, v0, v6
	s_wait_alu 0xfffd
	v_add_co_ci_u32_e32 v7, vcc_lo, v1, v7, vcc_lo
	global_store_b128 v[6:7], v[2:5], off
	global_load_b128 v[3:6], v214, s[8:9] offset:1024
	v_lshl_add_u32 v2, v233, 4, v240
	ds_load_b128 v[7:10], v2 offset:1024
	ds_load_b128 v[11:14], v2 offset:2048
	s_wait_loadcnt_dscnt 0x1
	v_mul_f64_e32 v[15:16], v[9:10], v[5:6]
	v_mul_f64_e32 v[5:6], v[7:8], v[5:6]
	s_delay_alu instid0(VALU_DEP_2) | instskip(NEXT) | instid1(VALU_DEP_2)
	v_fma_f64 v[7:8], v[7:8], v[3:4], v[15:16]
	v_fma_f64 v[5:6], v[3:4], v[9:10], -v[5:6]
	v_or_b32_e32 v15, 64, v200
	s_delay_alu instid0(VALU_DEP_1) | instskip(NEXT) | instid1(VALU_DEP_4)
	v_mad_co_u64_u32 v[9:10], null, s0, v15, 0
	v_mul_f64_e32 v[3:4], s[4:5], v[7:8]
	s_delay_alu instid0(VALU_DEP_4) | instskip(NEXT) | instid1(VALU_DEP_3)
	v_mul_f64_e32 v[5:6], s[4:5], v[5:6]
	v_mov_b32_e32 v7, v10
	s_delay_alu instid0(VALU_DEP_1) | instskip(NEXT) | instid1(VALU_DEP_1)
	v_mad_co_u64_u32 v[7:8], null, s1, v15, v[7:8]
	v_mov_b32_e32 v10, v7
	s_delay_alu instid0(VALU_DEP_1) | instskip(NEXT) | instid1(VALU_DEP_1)
	v_lshlrev_b64_e32 v[7:8], 4, v[9:10]
	v_add_co_u32 v7, vcc_lo, v0, v7
	s_wait_alu 0xfffd
	s_delay_alu instid0(VALU_DEP_2)
	v_add_co_ci_u32_e32 v8, vcc_lo, v1, v8, vcc_lo
	global_store_b128 v[7:8], v[3:6], off
	global_load_b128 v[3:6], v214, s[8:9] offset:2048
	s_wait_loadcnt_dscnt 0x0
	v_mul_f64_e32 v[7:8], v[13:14], v[5:6]
	v_mul_f64_e32 v[5:6], v[11:12], v[5:6]
	s_delay_alu instid0(VALU_DEP_2) | instskip(NEXT) | instid1(VALU_DEP_2)
	v_fma_f64 v[7:8], v[11:12], v[3:4], v[7:8]
	v_fma_f64 v[5:6], v[3:4], v[13:14], -v[5:6]
	v_or_b32_e32 v11, 0x80, v200
	s_delay_alu instid0(VALU_DEP_1) | instskip(NEXT) | instid1(VALU_DEP_4)
	v_mad_co_u64_u32 v[9:10], null, s0, v11, 0
	v_mul_f64_e32 v[3:4], s[4:5], v[7:8]
	s_delay_alu instid0(VALU_DEP_4) | instskip(NEXT) | instid1(VALU_DEP_3)
	v_mul_f64_e32 v[5:6], s[4:5], v[5:6]
	v_mov_b32_e32 v7, v10
	s_delay_alu instid0(VALU_DEP_1) | instskip(NEXT) | instid1(VALU_DEP_1)
	v_mad_co_u64_u32 v[7:8], null, s1, v11, v[7:8]
	v_mov_b32_e32 v10, v7
	s_delay_alu instid0(VALU_DEP_1) | instskip(NEXT) | instid1(VALU_DEP_1)
	v_lshlrev_b64_e32 v[7:8], 4, v[9:10]
	v_add_co_u32 v7, vcc_lo, v0, v7
	s_wait_alu 0xfffd
	s_delay_alu instid0(VALU_DEP_2)
	v_add_co_ci_u32_e32 v8, vcc_lo, v1, v8, vcc_lo
	global_store_b128 v[7:8], v[3:6], off
	global_load_b128 v[3:6], v214, s[8:9] offset:3072
	ds_load_b128 v[7:10], v2 offset:3072
	ds_load_b128 v[11:14], v2 offset:4096
	s_wait_loadcnt_dscnt 0x1
	v_mul_f64_e32 v[15:16], v[9:10], v[5:6]
	v_mul_f64_e32 v[5:6], v[7:8], v[5:6]
	s_delay_alu instid0(VALU_DEP_2) | instskip(NEXT) | instid1(VALU_DEP_2)
	v_fma_f64 v[7:8], v[7:8], v[3:4], v[15:16]
	v_fma_f64 v[5:6], v[3:4], v[9:10], -v[5:6]
	v_or_b32_e32 v15, 0xc0, v200
	s_delay_alu instid0(VALU_DEP_1) | instskip(NEXT) | instid1(VALU_DEP_4)
	v_mad_co_u64_u32 v[9:10], null, s0, v15, 0
	v_mul_f64_e32 v[3:4], s[4:5], v[7:8]
	s_delay_alu instid0(VALU_DEP_4) | instskip(NEXT) | instid1(VALU_DEP_3)
	v_mul_f64_e32 v[5:6], s[4:5], v[5:6]
	v_mov_b32_e32 v7, v10
	s_delay_alu instid0(VALU_DEP_1) | instskip(NEXT) | instid1(VALU_DEP_1)
	v_mad_co_u64_u32 v[7:8], null, s1, v15, v[7:8]
	v_mov_b32_e32 v10, v7
	s_delay_alu instid0(VALU_DEP_1) | instskip(NEXT) | instid1(VALU_DEP_1)
	v_lshlrev_b64_e32 v[7:8], 4, v[9:10]
	v_add_co_u32 v7, vcc_lo, v0, v7
	s_wait_alu 0xfffd
	s_delay_alu instid0(VALU_DEP_2)
	v_add_co_ci_u32_e32 v8, vcc_lo, v1, v8, vcc_lo
	global_store_b128 v[7:8], v[3:6], off
	global_load_b128 v[3:6], v214, s[8:9] offset:4096
	s_wait_loadcnt_dscnt 0x0
	v_mul_f64_e32 v[7:8], v[13:14], v[5:6]
	v_mul_f64_e32 v[5:6], v[11:12], v[5:6]
	s_delay_alu instid0(VALU_DEP_2) | instskip(NEXT) | instid1(VALU_DEP_2)
	v_fma_f64 v[7:8], v[11:12], v[3:4], v[7:8]
	v_fma_f64 v[5:6], v[3:4], v[13:14], -v[5:6]
	v_or_b32_e32 v11, 0x100, v200
	s_delay_alu instid0(VALU_DEP_1) | instskip(NEXT) | instid1(VALU_DEP_4)
	v_mad_co_u64_u32 v[9:10], null, s0, v11, 0
	v_mul_f64_e32 v[3:4], s[4:5], v[7:8]
	s_delay_alu instid0(VALU_DEP_4) | instskip(NEXT) | instid1(VALU_DEP_3)
	v_mul_f64_e32 v[5:6], s[4:5], v[5:6]
	v_mov_b32_e32 v7, v10
	s_delay_alu instid0(VALU_DEP_1) | instskip(NEXT) | instid1(VALU_DEP_1)
	v_mad_co_u64_u32 v[7:8], null, s1, v11, v[7:8]
	v_mov_b32_e32 v10, v7
	s_delay_alu instid0(VALU_DEP_1) | instskip(NEXT) | instid1(VALU_DEP_1)
	v_lshlrev_b64_e32 v[7:8], 4, v[9:10]
	v_add_co_u32 v7, vcc_lo, v0, v7
	s_wait_alu 0xfffd
	s_delay_alu instid0(VALU_DEP_2)
	v_add_co_ci_u32_e32 v8, vcc_lo, v1, v8, vcc_lo
	global_store_b128 v[7:8], v[3:6], off
	global_load_b128 v[3:6], v214, s[8:9] offset:5120
	;; [unrolled: 50-line block ×7, first 2 shown]
	ds_load_b128 v[7:10], v2 offset:15360
	ds_load_b128 v[11:14], v2 offset:16384
	s_wait_loadcnt_dscnt 0x1
	v_mul_f64_e32 v[15:16], v[9:10], v[5:6]
	v_mul_f64_e32 v[5:6], v[7:8], v[5:6]
	s_delay_alu instid0(VALU_DEP_2) | instskip(NEXT) | instid1(VALU_DEP_2)
	v_fma_f64 v[7:8], v[7:8], v[3:4], v[15:16]
	v_fma_f64 v[4:5], v[3:4], v[9:10], -v[5:6]
	v_or_b32_e32 v15, 0x3c0, v200
	s_delay_alu instid0(VALU_DEP_1) | instskip(NEXT) | instid1(VALU_DEP_1)
	v_mad_co_u64_u32 v[9:10], null, s0, v15, 0
	v_mov_b32_e32 v6, v10
	v_mul_f64_e32 v[2:3], s[4:5], v[7:8]
	v_mul_f64_e32 v[4:5], s[4:5], v[4:5]
	s_delay_alu instid0(VALU_DEP_3) | instskip(NEXT) | instid1(VALU_DEP_1)
	v_mad_co_u64_u32 v[6:7], null, s1, v15, v[6:7]
	v_mov_b32_e32 v10, v6
	s_delay_alu instid0(VALU_DEP_1) | instskip(SKIP_1) | instid1(VALU_DEP_2)
	v_lshlrev_b64_e32 v[6:7], 4, v[9:10]
	v_or_b32_e32 v10, 0x400, v200
	v_add_co_u32 v6, vcc_lo, v0, v6
	s_wait_alu 0xfffd
	s_delay_alu instid0(VALU_DEP_3) | instskip(NEXT) | instid1(VALU_DEP_3)
	v_add_co_ci_u32_e32 v7, vcc_lo, v1, v7, vcc_lo
	v_mad_co_u64_u32 v[8:9], null, s0, v10, 0
	global_store_b128 v[6:7], v[2:5], off
	global_load_b128 v[2:5], v214, s[8:9] offset:16384
	s_wait_loadcnt_dscnt 0x0
	v_mul_f64_e32 v[6:7], v[13:14], v[4:5]
	v_mul_f64_e32 v[4:5], v[11:12], v[4:5]
	s_delay_alu instid0(VALU_DEP_2) | instskip(NEXT) | instid1(VALU_DEP_2)
	v_fma_f64 v[6:7], v[11:12], v[2:3], v[6:7]
	v_fma_f64 v[4:5], v[2:3], v[13:14], -v[4:5]
	s_delay_alu instid0(VALU_DEP_2) | instskip(NEXT) | instid1(VALU_DEP_2)
	v_mul_f64_e32 v[2:3], s[4:5], v[6:7]
	v_mul_f64_e32 v[4:5], s[4:5], v[4:5]
	v_mov_b32_e32 v6, v9
                                        ; kill: def $vgpr7 killed $sgpr0 killed $exec
	s_delay_alu instid0(VALU_DEP_1) | instskip(NEXT) | instid1(VALU_DEP_1)
	v_mad_co_u64_u32 v[6:7], null, s1, v10, v[6:7]
	v_mov_b32_e32 v9, v6
	s_delay_alu instid0(VALU_DEP_1) | instskip(NEXT) | instid1(VALU_DEP_1)
	v_lshlrev_b64_e32 v[6:7], 4, v[8:9]
	v_add_co_u32 v0, vcc_lo, v0, v6
	s_wait_alu 0xfffd
	s_delay_alu instid0(VALU_DEP_2)
	v_add_co_ci_u32_e32 v1, vcc_lo, v1, v7, vcc_lo
	global_store_b128 v[0:1], v[2:5], off
.LBB0_15:
	s_nop 0
	s_sendmsg sendmsg(MSG_DEALLOC_VGPRS)
	s_endpgm
	.section	.rodata,"a",@progbits
	.p2align	6, 0x0
	.amdhsa_kernel bluestein_single_back_len1088_dim1_dp_op_CI_CI
		.amdhsa_group_segment_fixed_size 52224
		.amdhsa_private_segment_fixed_size 668
		.amdhsa_kernarg_size 104
		.amdhsa_user_sgpr_count 2
		.amdhsa_user_sgpr_dispatch_ptr 0
		.amdhsa_user_sgpr_queue_ptr 0
		.amdhsa_user_sgpr_kernarg_segment_ptr 1
		.amdhsa_user_sgpr_dispatch_id 0
		.amdhsa_user_sgpr_private_segment_size 0
		.amdhsa_wavefront_size32 1
		.amdhsa_uses_dynamic_stack 0
		.amdhsa_enable_private_segment 1
		.amdhsa_system_sgpr_workgroup_id_x 1
		.amdhsa_system_sgpr_workgroup_id_y 0
		.amdhsa_system_sgpr_workgroup_id_z 0
		.amdhsa_system_sgpr_workgroup_info 0
		.amdhsa_system_vgpr_workitem_id 0
		.amdhsa_next_free_vgpr 256
		.amdhsa_next_free_sgpr 58
		.amdhsa_reserve_vcc 1
		.amdhsa_float_round_mode_32 0
		.amdhsa_float_round_mode_16_64 0
		.amdhsa_float_denorm_mode_32 3
		.amdhsa_float_denorm_mode_16_64 3
		.amdhsa_fp16_overflow 0
		.amdhsa_workgroup_processor_mode 1
		.amdhsa_memory_ordered 1
		.amdhsa_forward_progress 0
		.amdhsa_round_robin_scheduling 0
		.amdhsa_exception_fp_ieee_invalid_op 0
		.amdhsa_exception_fp_denorm_src 0
		.amdhsa_exception_fp_ieee_div_zero 0
		.amdhsa_exception_fp_ieee_overflow 0
		.amdhsa_exception_fp_ieee_underflow 0
		.amdhsa_exception_fp_ieee_inexact 0
		.amdhsa_exception_int_div_zero 0
	.end_amdhsa_kernel
	.text
.Lfunc_end0:
	.size	bluestein_single_back_len1088_dim1_dp_op_CI_CI, .Lfunc_end0-bluestein_single_back_len1088_dim1_dp_op_CI_CI
                                        ; -- End function
	.section	.AMDGPU.csdata,"",@progbits
; Kernel info:
; codeLenInByte = 26564
; NumSgprs: 60
; NumVgprs: 256
; ScratchSize: 668
; MemoryBound: 0
; FloatMode: 240
; IeeeMode: 1
; LDSByteSize: 52224 bytes/workgroup (compile time only)
; SGPRBlocks: 7
; VGPRBlocks: 31
; NumSGPRsForWavesPerEU: 60
; NumVGPRsForWavesPerEU: 256
; Occupancy: 4
; WaveLimiterHint : 1
; COMPUTE_PGM_RSRC2:SCRATCH_EN: 1
; COMPUTE_PGM_RSRC2:USER_SGPR: 2
; COMPUTE_PGM_RSRC2:TRAP_HANDLER: 0
; COMPUTE_PGM_RSRC2:TGID_X_EN: 1
; COMPUTE_PGM_RSRC2:TGID_Y_EN: 0
; COMPUTE_PGM_RSRC2:TGID_Z_EN: 0
; COMPUTE_PGM_RSRC2:TIDIG_COMP_CNT: 0
	.text
	.p2alignl 7, 3214868480
	.fill 96, 4, 3214868480
	.type	__hip_cuid_2957c37f7f98cd45,@object ; @__hip_cuid_2957c37f7f98cd45
	.section	.bss,"aw",@nobits
	.globl	__hip_cuid_2957c37f7f98cd45
__hip_cuid_2957c37f7f98cd45:
	.byte	0                               ; 0x0
	.size	__hip_cuid_2957c37f7f98cd45, 1

	.ident	"AMD clang version 19.0.0git (https://github.com/RadeonOpenCompute/llvm-project roc-6.4.0 25133 c7fe45cf4b819c5991fe208aaa96edf142730f1d)"
	.section	".note.GNU-stack","",@progbits
	.addrsig
	.addrsig_sym __hip_cuid_2957c37f7f98cd45
	.amdgpu_metadata
---
amdhsa.kernels:
  - .args:
      - .actual_access:  read_only
        .address_space:  global
        .offset:         0
        .size:           8
        .value_kind:     global_buffer
      - .actual_access:  read_only
        .address_space:  global
        .offset:         8
        .size:           8
        .value_kind:     global_buffer
      - .actual_access:  read_only
        .address_space:  global
        .offset:         16
        .size:           8
        .value_kind:     global_buffer
      - .actual_access:  read_only
        .address_space:  global
        .offset:         24
        .size:           8
        .value_kind:     global_buffer
      - .actual_access:  read_only
        .address_space:  global
        .offset:         32
        .size:           8
        .value_kind:     global_buffer
      - .offset:         40
        .size:           8
        .value_kind:     by_value
      - .address_space:  global
        .offset:         48
        .size:           8
        .value_kind:     global_buffer
      - .address_space:  global
        .offset:         56
        .size:           8
        .value_kind:     global_buffer
      - .address_space:  global
        .offset:         64
        .size:           8
        .value_kind:     global_buffer
      - .address_space:  global
        .offset:         72
        .size:           8
        .value_kind:     global_buffer
      - .offset:         80
        .size:           4
        .value_kind:     by_value
      - .address_space:  global
        .offset:         88
        .size:           8
        .value_kind:     global_buffer
      - .address_space:  global
        .offset:         96
        .size:           8
        .value_kind:     global_buffer
    .group_segment_fixed_size: 52224
    .kernarg_segment_align: 8
    .kernarg_segment_size: 104
    .language:       OpenCL C
    .language_version:
      - 2
      - 0
    .max_flat_workgroup_size: 204
    .name:           bluestein_single_back_len1088_dim1_dp_op_CI_CI
    .private_segment_fixed_size: 668
    .sgpr_count:     60
    .sgpr_spill_count: 0
    .symbol:         bluestein_single_back_len1088_dim1_dp_op_CI_CI.kd
    .uniform_work_group_size: 1
    .uses_dynamic_stack: false
    .vgpr_count:     256
    .vgpr_spill_count: 166
    .wavefront_size: 32
    .workgroup_processor_mode: 1
amdhsa.target:   amdgcn-amd-amdhsa--gfx1201
amdhsa.version:
  - 1
  - 2
...

	.end_amdgpu_metadata
